;; amdgpu-corpus repo=ROCm/rocFFT kind=compiled arch=gfx950 opt=O3
	.text
	.amdgcn_target "amdgcn-amd-amdhsa--gfx950"
	.amdhsa_code_object_version 6
	.protected	fft_rtc_fwd_len1404_factors_2_2_3_13_3_3_wgs_117_tpt_117_halfLds_sp_op_CI_CI_unitstride_sbrr_C2R_dirReg ; -- Begin function fft_rtc_fwd_len1404_factors_2_2_3_13_3_3_wgs_117_tpt_117_halfLds_sp_op_CI_CI_unitstride_sbrr_C2R_dirReg
	.globl	fft_rtc_fwd_len1404_factors_2_2_3_13_3_3_wgs_117_tpt_117_halfLds_sp_op_CI_CI_unitstride_sbrr_C2R_dirReg
	.p2align	8
	.type	fft_rtc_fwd_len1404_factors_2_2_3_13_3_3_wgs_117_tpt_117_halfLds_sp_op_CI_CI_unitstride_sbrr_C2R_dirReg,@function
fft_rtc_fwd_len1404_factors_2_2_3_13_3_3_wgs_117_tpt_117_halfLds_sp_op_CI_CI_unitstride_sbrr_C2R_dirReg: ; @fft_rtc_fwd_len1404_factors_2_2_3_13_3_3_wgs_117_tpt_117_halfLds_sp_op_CI_CI_unitstride_sbrr_C2R_dirReg
; %bb.0:
	s_load_dwordx4 s[4:7], s[0:1], 0x58
	s_load_dwordx4 s[8:11], s[0:1], 0x0
	;; [unrolled: 1-line block ×3, first 2 shown]
	v_mul_u32_u24_e32 v1, 0x231, v0
	v_add_u32_sdwa v6, s2, v1 dst_sel:DWORD dst_unused:UNUSED_PAD src0_sel:DWORD src1_sel:WORD_1
	v_mov_b32_e32 v4, 0
	s_waitcnt lgkmcnt(0)
	v_cmp_lt_u64_e64 s[2:3], s[10:11], 2
	v_mov_b32_e32 v7, v4
	s_and_b64 vcc, exec, s[2:3]
	v_mov_b64_e32 v[2:3], 0
	s_cbranch_vccnz .LBB0_8
; %bb.1:
	s_load_dwordx2 s[2:3], s[0:1], 0x10
	s_add_u32 s16, s14, 8
	s_addc_u32 s17, s15, 0
	s_add_u32 s18, s12, 8
	s_addc_u32 s19, s13, 0
	s_waitcnt lgkmcnt(0)
	s_add_u32 s20, s2, 8
	v_mov_b64_e32 v[2:3], 0
	s_addc_u32 s21, s3, 0
	s_mov_b64 s[22:23], 1
	v_mov_b64_e32 v[24:25], v[2:3]
.LBB0_2:                                ; =>This Inner Loop Header: Depth=1
	s_load_dwordx2 s[24:25], s[20:21], 0x0
                                        ; implicit-def: $vgpr26_vgpr27
	s_waitcnt lgkmcnt(0)
	v_or_b32_e32 v5, s25, v7
	v_cmp_ne_u64_e32 vcc, 0, v[4:5]
	s_and_saveexec_b64 s[2:3], vcc
	s_xor_b64 s[26:27], exec, s[2:3]
	s_cbranch_execz .LBB0_4
; %bb.3:                                ;   in Loop: Header=BB0_2 Depth=1
	v_cvt_f32_u32_e32 v1, s24
	v_cvt_f32_u32_e32 v5, s25
	s_sub_u32 s2, 0, s24
	s_subb_u32 s3, 0, s25
	v_fmac_f32_e32 v1, 0x4f800000, v5
	v_rcp_f32_e32 v1, v1
	s_nop 0
	v_mul_f32_e32 v1, 0x5f7ffffc, v1
	v_mul_f32_e32 v5, 0x2f800000, v1
	v_trunc_f32_e32 v5, v5
	v_fmac_f32_e32 v1, 0xcf800000, v5
	v_cvt_u32_f32_e32 v5, v5
	v_cvt_u32_f32_e32 v1, v1
	v_mul_lo_u32 v8, s2, v5
	v_mul_hi_u32 v10, s2, v1
	v_mul_lo_u32 v9, s3, v1
	v_add_u32_e32 v10, v10, v8
	v_mul_lo_u32 v12, s2, v1
	v_add_u32_e32 v13, v10, v9
	v_mul_hi_u32 v8, v1, v12
	v_mul_hi_u32 v11, v1, v13
	v_mul_lo_u32 v10, v1, v13
	v_mov_b32_e32 v9, v4
	v_lshl_add_u64 v[8:9], v[8:9], 0, v[10:11]
	v_mul_hi_u32 v11, v5, v12
	v_mul_lo_u32 v12, v5, v12
	v_add_co_u32_e32 v8, vcc, v8, v12
	v_mul_hi_u32 v10, v5, v13
	s_nop 0
	v_addc_co_u32_e32 v8, vcc, v9, v11, vcc
	v_mov_b32_e32 v9, v4
	s_nop 0
	v_addc_co_u32_e32 v11, vcc, 0, v10, vcc
	v_mul_lo_u32 v10, v5, v13
	v_lshl_add_u64 v[8:9], v[8:9], 0, v[10:11]
	v_add_co_u32_e32 v1, vcc, v1, v8
	v_mul_lo_u32 v10, s2, v1
	s_nop 0
	v_addc_co_u32_e32 v5, vcc, v5, v9, vcc
	v_mul_lo_u32 v8, s2, v5
	v_mul_hi_u32 v9, s2, v1
	v_add_u32_e32 v8, v9, v8
	v_mul_lo_u32 v9, s3, v1
	v_add_u32_e32 v12, v8, v9
	v_mul_hi_u32 v14, v5, v10
	v_mul_lo_u32 v15, v5, v10
	v_mul_hi_u32 v9, v1, v12
	v_mul_lo_u32 v8, v1, v12
	v_mul_hi_u32 v10, v1, v10
	v_mov_b32_e32 v11, v4
	v_lshl_add_u64 v[8:9], v[10:11], 0, v[8:9]
	v_add_co_u32_e32 v8, vcc, v8, v15
	v_mul_hi_u32 v13, v5, v12
	s_nop 0
	v_addc_co_u32_e32 v8, vcc, v9, v14, vcc
	v_mul_lo_u32 v10, v5, v12
	s_nop 0
	v_addc_co_u32_e32 v11, vcc, 0, v13, vcc
	v_mov_b32_e32 v9, v4
	v_lshl_add_u64 v[8:9], v[8:9], 0, v[10:11]
	v_add_co_u32_e32 v1, vcc, v1, v8
	v_mul_hi_u32 v10, v6, v1
	s_nop 0
	v_addc_co_u32_e32 v5, vcc, v5, v9, vcc
	v_mad_u64_u32 v[8:9], s[2:3], v6, v5, 0
	v_mov_b32_e32 v11, v4
	v_lshl_add_u64 v[8:9], v[10:11], 0, v[8:9]
	v_mad_u64_u32 v[12:13], s[2:3], v7, v1, 0
	v_add_co_u32_e32 v1, vcc, v8, v12
	v_mad_u64_u32 v[10:11], s[2:3], v7, v5, 0
	s_nop 0
	v_addc_co_u32_e32 v8, vcc, v9, v13, vcc
	v_mov_b32_e32 v9, v4
	s_nop 0
	v_addc_co_u32_e32 v11, vcc, 0, v11, vcc
	v_lshl_add_u64 v[8:9], v[8:9], 0, v[10:11]
	v_mul_lo_u32 v1, s25, v8
	v_mul_lo_u32 v5, s24, v9
	v_mad_u64_u32 v[10:11], s[2:3], s24, v8, 0
	v_add3_u32 v1, v11, v5, v1
	v_sub_u32_e32 v5, v7, v1
	v_mov_b32_e32 v11, s25
	v_sub_co_u32_e32 v14, vcc, v6, v10
	v_lshl_add_u64 v[12:13], v[8:9], 0, 1
	s_nop 0
	v_subb_co_u32_e64 v5, s[2:3], v5, v11, vcc
	v_subrev_co_u32_e64 v10, s[2:3], s24, v14
	v_subb_co_u32_e32 v1, vcc, v7, v1, vcc
	s_nop 0
	v_subbrev_co_u32_e64 v5, s[2:3], 0, v5, s[2:3]
	v_cmp_le_u32_e64 s[2:3], s25, v5
	v_cmp_le_u32_e32 vcc, s25, v1
	s_nop 0
	v_cndmask_b32_e64 v11, 0, -1, s[2:3]
	v_cmp_le_u32_e64 s[2:3], s24, v10
	s_nop 1
	v_cndmask_b32_e64 v10, 0, -1, s[2:3]
	v_cmp_eq_u32_e64 s[2:3], s25, v5
	s_nop 1
	v_cndmask_b32_e64 v5, v11, v10, s[2:3]
	v_lshl_add_u64 v[10:11], v[8:9], 0, 2
	v_cmp_ne_u32_e64 s[2:3], 0, v5
	s_nop 1
	v_cndmask_b32_e64 v5, v13, v11, s[2:3]
	v_cndmask_b32_e64 v11, 0, -1, vcc
	v_cmp_le_u32_e32 vcc, s24, v14
	s_nop 1
	v_cndmask_b32_e64 v13, 0, -1, vcc
	v_cmp_eq_u32_e32 vcc, s25, v1
	s_nop 1
	v_cndmask_b32_e32 v1, v11, v13, vcc
	v_cmp_ne_u32_e32 vcc, 0, v1
	v_cndmask_b32_e64 v1, v12, v10, s[2:3]
	s_nop 0
	v_cndmask_b32_e32 v27, v9, v5, vcc
	v_cndmask_b32_e32 v26, v8, v1, vcc
.LBB0_4:                                ;   in Loop: Header=BB0_2 Depth=1
	s_andn2_saveexec_b64 s[2:3], s[26:27]
	s_cbranch_execz .LBB0_6
; %bb.5:                                ;   in Loop: Header=BB0_2 Depth=1
	v_cvt_f32_u32_e32 v1, s24
	s_sub_i32 s26, 0, s24
	v_mov_b32_e32 v27, v4
	v_rcp_iflag_f32_e32 v1, v1
	s_nop 0
	v_mul_f32_e32 v1, 0x4f7ffffe, v1
	v_cvt_u32_f32_e32 v1, v1
	v_mul_lo_u32 v5, s26, v1
	v_mul_hi_u32 v5, v1, v5
	v_add_u32_e32 v1, v1, v5
	v_mul_hi_u32 v1, v6, v1
	v_mul_lo_u32 v5, v1, s24
	v_sub_u32_e32 v5, v6, v5
	v_add_u32_e32 v8, 1, v1
	v_subrev_u32_e32 v9, s24, v5
	v_cmp_le_u32_e32 vcc, s24, v5
	s_nop 1
	v_cndmask_b32_e32 v5, v5, v9, vcc
	v_cndmask_b32_e32 v1, v1, v8, vcc
	v_add_u32_e32 v8, 1, v1
	v_cmp_le_u32_e32 vcc, s24, v5
	s_nop 1
	v_cndmask_b32_e32 v26, v1, v8, vcc
.LBB0_6:                                ;   in Loop: Header=BB0_2 Depth=1
	s_or_b64 exec, exec, s[2:3]
	v_mad_u64_u32 v[8:9], s[2:3], v26, s24, 0
	s_load_dwordx2 s[2:3], s[18:19], 0x0
	v_mul_lo_u32 v1, v27, s24
	v_mul_lo_u32 v5, v26, s25
	s_load_dwordx2 s[24:25], s[16:17], 0x0
	s_add_u32 s22, s22, 1
	v_add3_u32 v1, v9, v5, v1
	v_sub_co_u32_e32 v5, vcc, v6, v8
	s_addc_u32 s23, s23, 0
	s_nop 0
	v_subb_co_u32_e32 v1, vcc, v7, v1, vcc
	s_add_u32 s16, s16, 8
	s_waitcnt lgkmcnt(0)
	v_mul_lo_u32 v6, s2, v1
	v_mul_lo_u32 v7, s3, v5
	v_mad_u64_u32 v[2:3], s[2:3], s2, v5, v[2:3]
	s_addc_u32 s17, s17, 0
	v_add3_u32 v3, v7, v3, v6
	v_mul_lo_u32 v1, s24, v1
	v_mul_lo_u32 v6, s25, v5
	v_mad_u64_u32 v[24:25], s[2:3], s24, v5, v[24:25]
	s_add_u32 s18, s18, 8
	v_add3_u32 v25, v6, v25, v1
	s_addc_u32 s19, s19, 0
	v_mov_b64_e32 v[6:7], s[10:11]
	s_add_u32 s20, s20, 8
	v_cmp_ge_u64_e32 vcc, s[22:23], v[6:7]
	s_addc_u32 s21, s21, 0
	s_cbranch_vccnz .LBB0_9
; %bb.7:                                ;   in Loop: Header=BB0_2 Depth=1
	v_mov_b64_e32 v[6:7], v[26:27]
	s_branch .LBB0_2
.LBB0_8:
	v_mov_b64_e32 v[24:25], v[2:3]
	v_mov_b64_e32 v[26:27], v[6:7]
.LBB0_9:
	s_load_dwordx2 s[18:19], s[0:1], 0x28
	s_lshl_b64 s[16:17], s[10:11], 3
	s_add_u32 s2, s14, s16
	s_addc_u32 s3, s15, s17
                                        ; implicit-def: $vgpr28
	s_waitcnt lgkmcnt(0)
	v_cmp_gt_u64_e64 s[0:1], s[18:19], v[26:27]
	v_cmp_le_u64_e32 vcc, s[18:19], v[26:27]
	s_and_saveexec_b64 s[10:11], vcc
	s_xor_b64 s[10:11], exec, s[10:11]
; %bb.10:
	s_mov_b32 s14, 0x2302303
	v_mul_hi_u32 v1, v0, s14
	v_mul_u32_u24_e32 v1, 0x75, v1
	v_sub_u32_e32 v28, v0, v1
                                        ; implicit-def: $vgpr0
                                        ; implicit-def: $vgpr2_vgpr3
; %bb.11:
	s_or_saveexec_b64 s[10:11], s[10:11]
	s_load_dwordx2 s[2:3], s[2:3], 0x0
	s_xor_b64 exec, exec, s[10:11]
	s_cbranch_execz .LBB0_15
; %bb.12:
	s_add_u32 s12, s12, s16
	s_addc_u32 s13, s13, s17
	s_load_dwordx2 s[12:13], s[12:13], 0x0
	s_mov_b32 s14, 0x2302303
	s_waitcnt lgkmcnt(0)
	v_mul_lo_u32 v1, s13, v26
	v_mul_lo_u32 v6, s12, v27
	v_mad_u64_u32 v[4:5], s[12:13], s12, v26, 0
	v_add3_u32 v5, v5, v6, v1
	v_mul_hi_u32 v1, v0, s14
	v_mul_u32_u24_e32 v1, 0x75, v1
	v_sub_u32_e32 v28, v0, v1
	v_lshl_add_u64 v[0:1], v[4:5], 3, s[4:5]
	v_lshl_add_u64 v[2:3], v[2:3], 3, v[0:1]
	v_lshlrev_b32_e32 v0, 3, v28
	v_mov_b32_e32 v1, 0
	v_lshl_add_u64 v[4:5], v[2:3], 0, v[0:1]
	s_movk_i32 s4, 0x1000
	v_add_co_u32_e32 v14, vcc, s4, v4
	global_load_dwordx2 v[6:7], v[4:5], off
	global_load_dwordx2 v[8:9], v[4:5], off offset:936
	global_load_dwordx2 v[10:11], v[4:5], off offset:1872
	;; [unrolled: 1-line block ×3, first 2 shown]
	v_addc_co_u32_e32 v15, vcc, 0, v5, vcc
	global_load_dwordx2 v[16:17], v[4:5], off offset:3744
	global_load_dwordx2 v[18:19], v[14:15], off offset:584
	;; [unrolled: 1-line block ×4, first 2 shown]
	v_add_co_u32_e32 v4, vcc, 0x2000, v4
	s_movk_i32 s4, 0x74
	s_nop 0
	v_addc_co_u32_e32 v5, vcc, 0, v5, vcc
	global_load_dwordx2 v[30:31], v[14:15], off offset:3392
	global_load_dwordx2 v[32:33], v[4:5], off offset:232
	;; [unrolled: 1-line block ×4, first 2 shown]
	v_add_u32_e32 v0, 0, v0
	v_cmp_eq_u32_e32 vcc, s4, v28
	v_add_u32_e32 v4, 0x400, v0
	v_add_u32_e32 v5, 0xc00, v0
	;; [unrolled: 1-line block ×5, first 2 shown]
	s_waitcnt vmcnt(10)
	ds_write2_b64 v0, v[6:7], v[8:9] offset1:117
	s_waitcnt vmcnt(8)
	ds_write2_b64 v4, v[10:11], v[12:13] offset0:106 offset1:223
	s_waitcnt vmcnt(6)
	ds_write2_b64 v5, v[16:17], v[18:19] offset0:84 offset1:201
	;; [unrolled: 2-line block ×5, first 2 shown]
	s_and_saveexec_b64 s[4:5], vcc
	s_cbranch_execz .LBB0_14
; %bb.13:
	v_add_co_u32_e32 v2, vcc, 0x2000, v2
	v_mov_b32_e32 v28, 0x74
	s_nop 0
	v_addc_co_u32_e32 v3, vcc, 0, v3, vcc
	global_load_dwordx2 v[2:3], v[2:3], off offset:3040
	s_waitcnt vmcnt(0)
	ds_write_b64 v1, v[2:3] offset:11232
.LBB0_14:
	s_or_b64 exec, exec, s[4:5]
.LBB0_15:
	s_or_b64 exec, exec, s[10:11]
	v_lshlrev_b32_e32 v0, 3, v28
	v_add_u32_e32 v92, 0, v0
	s_waitcnt lgkmcnt(0)
	s_barrier
	v_sub_u32_e32 v4, 0, v0
	ds_read_b32 v1, v92
	ds_read_b32 v2, v4 offset:11232
	s_add_u32 s4, s8, 0x2bd0
	s_addc_u32 s5, s9, 0
	v_cmp_ne_u32_e32 vcc, 0, v28
	s_waitcnt lgkmcnt(0)
	v_add_f32_e32 v0, v2, v1
	v_sub_f32_e32 v1, v1, v2
                                        ; implicit-def: $vgpr2_vgpr3
	s_and_saveexec_b64 s[10:11], vcc
	s_xor_b64 s[10:11], exec, s[10:11]
	s_cbranch_execz .LBB0_17
; %bb.16:
	v_mov_b32_e32 v29, 0
	v_lshl_add_u64 v[2:3], v[28:29], 3, s[4:5]
	global_load_dwordx2 v[6:7], v[2:3], off
	ds_read_b32 v5, v4 offset:11236
	ds_read_b32 v11, v92 offset:4
	v_mov_b32_e32 v8, v1
	v_mov_b32_e32 v10, v0
	;; [unrolled: 1-line block ×3, first 2 shown]
	v_mov_b64_e32 v[2:3], v[28:29]
	s_waitcnt lgkmcnt(0)
	v_add_f32_e32 v9, v5, v11
	v_sub_f32_e32 v11, v11, v5
	v_mov_b32_e32 v12, v9
	s_waitcnt vmcnt(0)
	v_pk_mul_f32 v[14:15], v[8:9], v[6:7] op_sel:[0,1]
	v_pk_fma_f32 v[8:9], v[8:9], v[6:7], v[10:11] op_sel:[0,1,0]
	v_mov_b32_e32 v1, v15
	v_mov_b32_e32 v15, v11
	v_pk_fma_f32 v[16:17], v[6:7], v[12:13], v[8:9] neg_lo:[1,0,0] neg_hi:[1,0,0]
	v_pk_fma_f32 v[8:9], v[6:7], v[12:13], v[8:9] op_sel_hi:[0,1,1]
	v_pk_add_f32 v[0:1], v[0:1], v[14:15] neg_lo:[0,1] neg_hi:[0,1]
	v_mov_b32_e32 v17, v9
	v_pk_fma_f32 v[0:1], v[6:7], v[12:13], v[0:1] op_sel_hi:[0,1,1]
	ds_write_b64 v4, v[0:1] offset:11232
	v_mov_b64_e32 v[0:1], v[16:17]
.LBB0_17:
	s_andn2_saveexec_b64 s[10:11], s[10:11]
	s_cbranch_execz .LBB0_19
; %bb.18:
	v_mov_b32_e32 v5, 0
	ds_read_b64 v[2:3], v5 offset:5616
	s_mov_b32 s12, 2.0
	s_mov_b32 s13, -2.0
	s_waitcnt lgkmcnt(0)
	v_pk_mul_f32 v[2:3], v[2:3], s[12:13]
	ds_write_b64 v5, v[2:3] offset:5616
	v_mov_b64_e32 v[2:3], 0
.LBB0_19:
	s_or_b64 exec, exec, s[10:11]
	v_lshl_add_u64 v[2:3], v[2:3], 3, s[4:5]
	global_load_dwordx2 v[6:7], v[2:3], off offset:936
	global_load_dwordx2 v[8:9], v[2:3], off offset:1872
	;; [unrolled: 1-line block ×3, first 2 shown]
	ds_write_b64 v92, v[0:1]
	global_load_dwordx2 v[0:1], v[2:3], off offset:3744
	s_movk_i32 s4, 0x1000
	v_add_co_u32_e32 v2, vcc, s4, v2
	ds_read_b64 v[12:13], v4 offset:10296
	ds_read_b64 v[14:15], v92 offset:936
	v_addc_co_u32_e32 v3, vcc, 0, v3, vcc
	global_load_dwordx2 v[2:3], v[2:3], off offset:584
	v_add_u32_e32 v60, 0x1400, v92
	s_waitcnt lgkmcnt(0)
	v_pk_add_f32 v[16:17], v[14:15], v[12:13]
	v_pk_add_f32 v[12:13], v[14:15], v[12:13] neg_lo:[0,1] neg_hi:[0,1]
	v_mov_b32_e32 v14, v17
	v_mov_b32_e32 v15, v12
	;; [unrolled: 1-line block ×3, first 2 shown]
	v_add_u32_e32 v22, 0x400, v92
	v_add_u32_e32 v61, 0x1c00, v92
	;; [unrolled: 1-line block ×9, first 2 shown]
	v_lshl_add_u32 v32, v28, 3, v92
	v_lshl_add_u32 v34, v35, 4, 0
	;; [unrolled: 1-line block ×6, first 2 shown]
	s_movk_i32 s4, 0xfc
	s_movk_i32 s5, 0x1fc
	;; [unrolled: 1-line block ×5, first 2 shown]
	v_and_b32_e32 v71, 3, v29
	s_waitcnt vmcnt(4)
	v_pk_mul_f32 v[18:19], v[14:15], v[6:7] op_sel:[0,1]
	s_nop 0
	v_pk_add_f32 v[20:21], v[16:17], v[18:19] op_sel:[0,1] op_sel_hi:[1,0]
	v_mov_b32_e32 v17, v18
	v_mov_b32_e32 v12, v19
	v_pk_fma_f32 v[18:19], v[6:7], v[14:15], v[20:21] neg_lo:[1,0,0] neg_hi:[1,0,0]
	v_pk_fma_f32 v[20:21], v[6:7], v[14:15], v[20:21] op_sel_hi:[0,1,1]
	v_pk_add_f32 v[12:13], v[16:17], v[12:13] neg_lo:[0,1] neg_hi:[0,1]
	v_mov_b32_e32 v19, v21
	v_pk_fma_f32 v[6:7], v[6:7], v[14:15], v[12:13] op_sel_hi:[0,1,1]
	ds_write_b64 v92, v[18:19] offset:936
	ds_write_b64 v4, v[6:7] offset:10296
	ds_read_b64 v[6:7], v4 offset:9360
	ds_read_b64 v[12:13], v92 offset:1872
	s_waitcnt lgkmcnt(0)
	v_pk_add_f32 v[14:15], v[12:13], v[6:7]
	v_pk_add_f32 v[6:7], v[12:13], v[6:7] neg_lo:[0,1] neg_hi:[0,1]
	v_mov_b32_e32 v12, v15
	v_mov_b32_e32 v13, v6
	v_mov_b32_e32 v15, v7
	s_waitcnt vmcnt(3)
	v_pk_mul_f32 v[16:17], v[12:13], v[8:9] op_sel:[0,1]
	s_nop 0
	v_pk_add_f32 v[18:19], v[14:15], v[16:17] op_sel:[0,1] op_sel_hi:[1,0]
	v_mov_b32_e32 v15, v16
	v_mov_b32_e32 v6, v17
	v_pk_fma_f32 v[16:17], v[8:9], v[12:13], v[18:19] neg_lo:[1,0,0] neg_hi:[1,0,0]
	v_pk_fma_f32 v[18:19], v[8:9], v[12:13], v[18:19] op_sel_hi:[0,1,1]
	v_pk_add_f32 v[6:7], v[14:15], v[6:7] neg_lo:[0,1] neg_hi:[0,1]
	v_mov_b32_e32 v17, v19
	v_pk_fma_f32 v[6:7], v[8:9], v[12:13], v[6:7] op_sel_hi:[0,1,1]
	ds_write_b64 v92, v[16:17] offset:1872
	ds_write_b64 v4, v[6:7] offset:9360
	ds_read_b64 v[6:7], v4 offset:8424
	ds_read_b64 v[8:9], v92 offset:2808
	s_waitcnt lgkmcnt(0)
	v_pk_add_f32 v[12:13], v[8:9], v[6:7]
	v_pk_add_f32 v[6:7], v[8:9], v[6:7] neg_lo:[0,1] neg_hi:[0,1]
	v_mov_b32_e32 v8, v13
	v_mov_b32_e32 v9, v6
	v_mov_b32_e32 v13, v7
	;; [unrolled: 21-line block ×4, first 2 shown]
	s_waitcnt vmcnt(0)
	v_pk_mul_f32 v[10:11], v[6:7], v[2:3] op_sel:[0,1]
	s_nop 0
	v_pk_add_f32 v[12:13], v[8:9], v[10:11] op_sel:[0,1] op_sel_hi:[1,0]
	v_mov_b32_e32 v9, v10
	v_mov_b32_e32 v0, v11
	v_pk_fma_f32 v[10:11], v[2:3], v[6:7], v[12:13] neg_lo:[1,0,0] neg_hi:[1,0,0]
	v_pk_fma_f32 v[12:13], v[2:3], v[6:7], v[12:13] op_sel_hi:[0,1,1]
	v_pk_add_f32 v[0:1], v[8:9], v[0:1] neg_lo:[0,1] neg_hi:[0,1]
	v_mov_b32_e32 v11, v13
	v_pk_fma_f32 v[0:1], v[2:3], v[6:7], v[0:1] op_sel_hi:[0,1,1]
	ds_write_b64 v92, v[10:11] offset:4680
	ds_write_b64 v4, v[0:1] offset:6552
	s_waitcnt lgkmcnt(0)
	s_barrier
	s_barrier
	ds_read2_b64 v[0:3], v92 offset1:117
	ds_read2_b64 v[4:7], v60 offset0:62 offset1:179
	ds_read2_b64 v[8:11], v22 offset0:106 offset1:223
	;; [unrolled: 1-line block ×5, first 2 shown]
	s_waitcnt lgkmcnt(4)
	v_pk_add_f32 v[4:5], v[0:1], v[4:5] neg_lo:[0,1] neg_hi:[0,1]
	v_pk_add_f32 v[6:7], v[2:3], v[6:7] neg_lo:[0,1] neg_hi:[0,1]
	s_waitcnt lgkmcnt(2)
	v_pk_add_f32 v[12:13], v[8:9], v[12:13] neg_lo:[0,1] neg_hi:[0,1]
	v_pk_add_f32 v[14:15], v[10:11], v[14:15] neg_lo:[0,1] neg_hi:[0,1]
	s_waitcnt lgkmcnt(0)
	v_pk_add_f32 v[20:21], v[16:17], v[36:37] neg_lo:[0,1] neg_hi:[0,1]
	v_pk_fma_f32 v[0:1], v[0:1], 2.0, v[4:5] op_sel_hi:[1,0,1] neg_lo:[0,0,1] neg_hi:[0,0,1]
	v_pk_add_f32 v[30:31], v[18:19], v[38:39] neg_lo:[0,1] neg_hi:[0,1]
	v_pk_fma_f32 v[2:3], v[2:3], 2.0, v[6:7] op_sel_hi:[1,0,1] neg_lo:[0,0,1] neg_hi:[0,0,1]
	v_pk_fma_f32 v[8:9], v[8:9], 2.0, v[12:13] op_sel_hi:[1,0,1] neg_lo:[0,0,1] neg_hi:[0,0,1]
	;; [unrolled: 1-line block ×5, first 2 shown]
	s_barrier
	ds_write2_b64 v32, v[0:1], v[4:5] offset1:1
	ds_write2_b64 v34, v[2:3], v[6:7] offset1:1
	;; [unrolled: 1-line block ×6, first 2 shown]
	v_and_b32_e32 v0, 1, v28
	v_lshlrev_b32_e32 v1, 3, v0
	v_and_b32_e32 v2, 1, v29
	v_and_b32_e32 v4, 1, v41
	s_waitcnt lgkmcnt(0)
	s_barrier
	v_lshlrev_b32_e32 v3, 3, v2
	v_lshlrev_b32_e32 v5, 3, v4
	global_load_dwordx2 v[20:21], v1, s[8:9]
	global_load_dwordx2 v[42:43], v5, s[8:9]
	;; [unrolled: 1-line block ×3, first 2 shown]
	v_and_b32_e32 v1, 1, v35
	v_lshlrev_b32_e32 v3, 3, v1
	global_load_dwordx2 v[46:47], v3, s[8:9]
	v_lshlrev_b32_e32 v30, 1, v28
	v_lshlrev_b32_e32 v36, 1, v35
	;; [unrolled: 1-line block ×6, first 2 shown]
	v_and_or_b32 v6, v30, s4, v0
	v_lshl_add_u32 v31, v6, 3, 0
	v_and_or_b32 v1, v36, s5, v1
	v_and_or_b32 v6, v34, s10, v0
	;; [unrolled: 1-line block ×5, first 2 shown]
	v_lshl_add_u32 v37, v1, 3, 0
	v_lshl_add_u32 v63, v6, 3, 0
	;; [unrolled: 1-line block ×5, first 2 shown]
	ds_read2_b64 v[0:3], v62 offset0:18 offset1:135
	ds_read2_b64 v[4:7], v61 offset0:40 offset1:157
	ds_read2_b64 v[8:11], v92 offset1:117
	ds_read2_b64 v[12:15], v60 offset0:62 offset1:179
	ds_read2_b64 v[16:19], v23 offset0:84 offset1:201
	ds_read2_b64 v[38:41], v22 offset0:106 offset1:223
	s_waitcnt lgkmcnt(0)
	s_barrier
	s_mov_b32 s4, 0x3f5db3d7
	s_waitcnt vmcnt(3)
	v_pk_mul_f32 v[50:51], v[20:21], v[0:1] op_sel:[0,1]
	s_waitcnt vmcnt(2)
	v_pk_mul_f32 v[48:49], v[42:43], v[2:3] op_sel:[0,1]
	;; [unrolled: 2-line block ×3, first 2 shown]
	v_pk_mul_f32 v[54:55], v[20:21], v[4:5] op_sel:[0,1]
	v_pk_fma_f32 v[58:59], v[42:43], v[2:3], v[48:49] op_sel:[0,0,1] op_sel_hi:[1,1,0] neg_lo:[0,0,1] neg_hi:[0,0,1]
	v_pk_fma_f32 v[2:3], v[42:43], v[2:3], v[48:49] op_sel:[0,0,1] op_sel_hi:[1,0,0]
	v_pk_fma_f32 v[42:43], v[20:21], v[0:1], v[50:51] op_sel:[0,0,1] op_sel_hi:[1,1,0] neg_lo:[0,0,1] neg_hi:[0,0,1]
	v_pk_fma_f32 v[0:1], v[20:21], v[0:1], v[50:51] op_sel:[0,0,1] op_sel_hi:[1,0,0]
	;; [unrolled: 2-line block ×4, first 2 shown]
	v_mov_b32_e32 v43, v1
	v_mov_b32_e32 v59, v3
	;; [unrolled: 1-line block ×3, first 2 shown]
	v_pk_add_f32 v[2:3], v[16:17], v[42:43] neg_lo:[0,1] neg_hi:[0,1]
	v_pk_mul_f32 v[42:43], v[20:21], v[12:13] op_sel:[0,1]
	s_waitcnt vmcnt(0)
	v_pk_mul_f32 v[56:57], v[46:47], v[14:15] op_sel:[0,1]
	v_mov_b32_e32 v49, v7
	v_pk_add_f32 v[6:7], v[38:39], v[44:45] neg_lo:[0,1] neg_hi:[0,1]
	v_pk_fma_f32 v[44:45], v[20:21], v[12:13], v[42:43] op_sel:[0,0,1] op_sel_hi:[1,1,0] neg_lo:[0,0,1] neg_hi:[0,0,1]
	v_pk_fma_f32 v[12:13], v[20:21], v[12:13], v[42:43] op_sel:[0,0,1] op_sel_hi:[1,0,0]
	v_pk_fma_f32 v[50:51], v[46:47], v[14:15], v[56:57] op_sel:[0,0,1] op_sel_hi:[1,1,0] neg_lo:[0,0,1] neg_hi:[0,0,1]
	v_pk_fma_f32 v[14:15], v[46:47], v[14:15], v[56:57] op_sel:[0,0,1] op_sel_hi:[1,0,0]
	v_mov_b32_e32 v45, v13
	v_mov_b32_e32 v51, v15
	v_pk_add_f32 v[12:13], v[8:9], v[44:45] neg_lo:[0,1] neg_hi:[0,1]
	v_pk_add_f32 v[0:1], v[18:19], v[58:59] neg_lo:[0,1] neg_hi:[0,1]
	;; [unrolled: 1-line block ×4, first 2 shown]
	v_pk_fma_f32 v[8:9], v[8:9], 2.0, v[12:13] op_sel_hi:[1,0,1] neg_lo:[0,0,1] neg_hi:[0,0,1]
	v_pk_fma_f32 v[18:19], v[18:19], 2.0, v[0:1] op_sel_hi:[1,0,1] neg_lo:[0,0,1] neg_hi:[0,0,1]
	;; [unrolled: 1-line block ×6, first 2 shown]
	ds_write2_b64 v31, v[8:9], v[12:13] offset1:2
	ds_write2_b64 v37, v[10:11], v[14:15] offset1:2
	;; [unrolled: 1-line block ×6, first 2 shown]
	v_and_b32_e32 v31, 3, v28
	v_lshlrev_b32_e32 v8, 4, v31
	v_and_b32_e32 v37, 3, v35
	v_and_b32_e32 v65, 3, v33
	s_waitcnt lgkmcnt(0)
	s_barrier
	v_lshlrev_b32_e32 v9, 4, v37
	global_load_dwordx4 v[0:3], v8, s[8:9] offset:16
	global_load_dwordx4 v[4:7], v9, s[8:9] offset:16
	v_lshlrev_b32_e32 v8, 4, v65
	v_lshlrev_b32_e32 v12, 4, v71
	global_load_dwordx4 v[8:11], v8, s[8:9] offset:16
	v_lshrrev_b32_e32 v16, 2, v28
	global_load_dwordx4 v[12:15], v12, s[8:9] offset:16
	v_mul_u32_u24_e32 v75, 12, v16
	ds_read2_b64 v[16:19], v60 offset0:62 offset1:179
	ds_read2_b64 v[38:41], v62 offset0:18 offset1:135
	;; [unrolled: 1-line block ×4, first 2 shown]
	ds_read2_b64 v[50:53], v92 offset1:117
	s_waitcnt lgkmcnt(4)
	v_mov_b32_e32 v20, v19
	s_waitcnt lgkmcnt(3)
	v_mov_b32_e32 v54, v41
	s_waitcnt vmcnt(3) lgkmcnt(2)
	v_pk_mul_f32 v[56:57], v[0:1], v[42:43] op_sel:[1,1] op_sel_hi:[0,1]
	s_waitcnt lgkmcnt(1)
	v_pk_mul_f32 v[58:59], v[2:3], v[46:47] op_sel:[0,1]
	s_waitcnt vmcnt(2)
	v_pk_mul_f32 v[60:61], v[4:5], v[44:45] op_sel:[0,1]
	v_pk_fma_f32 v[78:79], v[0:1], v[42:43], v[56:57] neg_lo:[0,0,1] neg_hi:[0,0,1]
	v_pk_fma_f32 v[0:1], v[0:1], v[42:43], v[56:57] op_sel_hi:[1,0,1]
	v_pk_fma_f32 v[42:43], v[2:3], v[46:47], v[58:59] op_sel:[0,0,1] op_sel_hi:[1,1,0] neg_lo:[0,0,1] neg_hi:[0,0,1]
	v_pk_fma_f32 v[2:3], v[2:3], v[46:47], v[58:59] op_sel:[0,0,1] op_sel_hi:[1,0,0]
	v_pk_mul_f32 v[62:63], v[6:7], v[48:49] op_sel:[0,1]
	s_waitcnt vmcnt(1)
	v_mov_b32_e32 v64, v11
	v_pk_mul_f32 v[66:67], v[38:39], v[10:11] op_sel:[1,0] op_sel_hi:[0,1]
	v_pk_mul_f32 v[68:69], v[8:9], v[16:17] op_sel:[0,1]
	s_waitcnt vmcnt(0)
	v_mov_b32_e32 v70, v13
	v_pk_fma_f32 v[46:47], v[4:5], v[44:45], v[60:61] op_sel:[0,0,1] op_sel_hi:[1,0,0]
	v_pk_fma_f32 v[44:45], v[4:5], v[44:45], v[60:61] op_sel:[0,0,1] op_sel_hi:[1,0,0] neg_lo:[0,0,1] neg_hi:[0,0,1]
	v_mov_b32_e32 v79, v1
	v_mov_b32_e32 v43, v3
	v_pk_fma_f32 v[4:5], v[6:7], v[48:49], v[62:63] op_sel:[0,0,1] op_sel_hi:[1,0,0]
	v_pk_fma_f32 v[48:49], v[6:7], v[48:49], v[62:63] op_sel:[0,0,1] op_sel_hi:[1,0,0] neg_lo:[0,0,1] neg_hi:[0,0,1]
	v_pk_mul_f32 v[6:7], v[38:39], v[64:65] op_sel:[1,0] op_sel_hi:[0,1]
	v_mov_b32_e32 v21, v66
	v_pk_fma_f32 v[56:57], v[8:9], v[16:17], v[68:69] op_sel:[0,0,1] op_sel_hi:[1,1,0] neg_lo:[0,0,1] neg_hi:[0,0,1]
	v_pk_fma_f32 v[16:17], v[8:9], v[16:17], v[68:69] op_sel:[0,0,1] op_sel_hi:[1,0,0]
	v_pk_mul_f32 v[8:9], v[18:19], v[70:71]
	v_mov_b32_e32 v45, v47
	v_pk_add_f32 v[2:3], v[78:79], v[42:43]
	v_mov_b32_e32 v74, v15
	v_pk_fma_f32 v[58:59], v[38:39], v[10:11], v[6:7] neg_lo:[0,0,1] neg_hi:[0,0,1]
	v_pk_fma_f32 v[10:11], v[38:39], v[10:11], v[20:21] op_sel:[1,0,0] op_sel_hi:[0,1,1]
	v_pk_fma_f32 v[60:61], v[20:21], v[12:13], v[8:9]
	v_mov_b32_e32 v49, v5
	v_pk_add_f32 v[8:9], v[78:79], v[42:43] neg_lo:[0,1] neg_hi:[0,1]
	s_waitcnt lgkmcnt(0)
	v_pk_add_f32 v[4:5], v[52:53], v[44:45]
	v_pk_fma_f32 v[2:3], v[2:3], 0.5, v[50:51] op_sel_hi:[1,0,1] neg_lo:[1,0,0] neg_hi:[1,0,0]
	v_pk_mul_f32 v[72:73], v[18:19], v[12:13]
	v_pk_mul_f32 v[18:19], v[40:41], v[74:75]
	v_pk_add_f32 v[0:1], v[50:51], v[78:79]
	v_pk_add_f32 v[6:7], v[4:5], v[48:49]
	v_pk_fma_f32 v[4:5], v[8:9], s[4:5], v[2:3] op_sel:[0,0,1] op_sel_hi:[1,0,0] neg_lo:[1,0,0] neg_hi:[1,0,0]
	v_pk_fma_f32 v[8:9], v[8:9], s[4:5], v[2:3] op_sel:[0,0,1] op_sel_hi:[1,0,0]
	v_or_b32_e32 v2, v75, v31
	v_mov_b32_e32 v59, v11
	v_pk_add_f32 v[10:11], v[44:45], v[48:49]
	v_pk_mul_f32 v[76:77], v[40:41], v[14:15]
	v_pk_fma_f32 v[54:55], v[54:55], v[14:15], v[18:19]
	v_pk_add_f32 v[0:1], v[0:1], v[42:43]
	v_lshl_add_u32 v16, v2, 3, 0
	v_pk_fma_f32 v[14:15], v[10:11], 0.5, v[52:53] op_sel_hi:[1,0,1] neg_lo:[1,0,0] neg_hi:[1,0,0]
	v_mov_b32_e32 v10, v9
	v_mov_b32_e32 v11, v4
	ds_read2_b64 v[18:21], v22 offset0:106 offset1:223
	s_waitcnt lgkmcnt(0)
	s_barrier
	ds_write2_b64 v16, v[0:1], v[10:11] offset1:4
	v_mov_b32_e32 v10, v5
	v_mov_b32_e32 v11, v8
	v_lshrrev_b32_e32 v2, 2, v35
	ds_write_b64 v16, v[10:11] offset:64
	v_pk_add_f32 v[10:11], v[44:45], v[48:49] neg_lo:[0,1] neg_hi:[0,1]
	v_mul_u32_u24_e32 v2, 12, v2
	v_mov_b32_e32 v57, v17
	v_pk_mul_f32 v[16:17], v[10:11], s[4:5] op_sel_hi:[1,0]
	v_or_b32_e32 v2, v2, v37
	v_pk_add_f32 v[10:11], v[14:15], v[16:17] op_sel:[0,1] op_sel_hi:[1,0]
	v_pk_add_f32 v[14:15], v[14:15], v[16:17] op_sel:[0,1] op_sel_hi:[1,0] neg_lo:[0,1] neg_hi:[0,1]
	v_lshl_add_u32 v31, v2, 3, 0
	v_mov_b32_e32 v16, v10
	v_mov_b32_e32 v17, v15
	ds_write2_b64 v31, v[6:7], v[16:17] offset1:4
	v_mov_b32_e32 v16, v14
	v_mov_b32_e32 v17, v11
	ds_write_b64 v31, v[16:17] offset:64
	v_pk_add_f32 v[16:17], v[56:57], v[58:59]
	v_lshrrev_b32_e32 v2, 2, v33
	v_pk_add_f32 v[12:13], v[18:19], v[56:57]
	v_pk_fma_f32 v[18:19], v[16:17], 0.5, v[18:19] op_sel_hi:[1,0,1] neg_lo:[1,0,0] neg_hi:[1,0,0]
	v_pk_add_f32 v[16:17], v[56:57], v[58:59] neg_lo:[0,1] neg_hi:[0,1]
	v_mul_u32_u24_e32 v2, 12, v2
	v_pk_mul_f32 v[38:39], v[16:17], s[4:5] op_sel_hi:[1,0]
	v_mov_b32_e32 v40, v72
	v_mov_b32_e32 v41, v76
	;; [unrolled: 1-line block ×3, first 2 shown]
	v_or_b32_e32 v2, v2, v65
	v_pk_add_f32 v[16:17], v[18:19], v[38:39] op_sel:[0,1] op_sel_hi:[1,0]
	v_pk_add_f32 v[38:39], v[18:19], v[38:39] op_sel:[0,1] op_sel_hi:[1,0] neg_lo:[0,1] neg_hi:[0,1]
	v_pk_add_f32 v[40:41], v[40:41], v[76:77] neg_lo:[0,1] neg_hi:[0,1]
	v_lshl_add_u32 v37, v2, 3, 0
	v_pk_add_f32 v[12:13], v[12:13], v[58:59]
	v_mov_b32_e32 v18, v16
	v_mov_b32_e32 v19, v39
	;; [unrolled: 1-line block ×4, first 2 shown]
	ds_write2_b64 v37, v[12:13], v[18:19] offset1:4
	v_mov_b32_e32 v18, v38
	v_mov_b32_e32 v19, v17
	v_mov_b32_e32 v42, v41
	v_mov_b32_e32 v43, v54
	ds_write_b64 v37, v[18:19] offset:64
	v_pk_add_f32 v[18:19], v[20:21], v[2:3]
	v_lshrrev_b32_e32 v31, 2, v29
	v_pk_add_f32 v[2:3], v[2:3], v[42:43]
	v_mov_b32_e32 v61, v40
	v_mov_b32_e32 v55, v41
	v_pk_add_f32 v[18:19], v[18:19], v[42:43]
	v_mul_u32_u24_e32 v31, 12, v31
	v_pk_add_f32 v[42:43], v[60:61], v[54:55] neg_lo:[0,1] neg_hi:[0,1]
	v_pk_fma_f32 v[2:3], v[2:3], 0.5, v[20:21] op_sel_hi:[1,0,1] neg_lo:[1,0,0] neg_hi:[1,0,0]
	v_or_b32_e32 v31, v31, v71
	v_pk_fma_f32 v[40:41], v[42:43], s[4:5], v[2:3] op_sel_hi:[1,0,1]
	v_pk_fma_f32 v[20:21], v[42:43], s[4:5], v[2:3] op_sel_hi:[1,0,1] neg_lo:[1,0,0] neg_hi:[1,0,0]
	v_lshl_add_u32 v31, v31, 3, 0
	v_mov_b32_e32 v2, v40
	v_mov_b32_e32 v3, v21
	s_movk_i32 s4, 0x6c
	ds_write2_b64 v31, v[18:19], v[2:3] offset1:4
	v_mov_b32_e32 v2, v20
	v_mov_b32_e32 v3, v41
	v_cmp_gt_u32_e32 vcc, s4, v28
	ds_write_b64 v31, v[2:3] offset:64
	s_waitcnt lgkmcnt(0)
	s_barrier
	s_waitcnt lgkmcnt(0)
                                        ; implicit-def: $vgpr43
	s_and_saveexec_b64 s[4:5], vcc
	s_cbranch_execz .LBB0_21
; %bb.20:
	v_add_u32_e32 v12, 0x1800, v92
	ds_read2_b64 v[0:3], v92 offset1:108
	ds_read2_b64 v[4:7], v22 offset0:88 offset1:196
	ds_read2_b64 v[8:11], v23 offset0:48 offset1:156
	ds_read2_b64 v[16:19], v12 offset0:96 offset1:204
	v_add_u32_e32 v12, 0x2000, v92
	ds_read2_b64 v[20:23], v12 offset0:56 offset1:164
	v_add_u32_e32 v12, 0x1000, v92
	ds_read2_b64 v[12:15], v12 offset0:136 offset1:244
	ds_read_b64 v[42:43], v92 offset:10368
	s_waitcnt lgkmcnt(3)
	v_mov_b32_e32 v38, v16
	s_waitcnt lgkmcnt(2)
	v_mov_b32_e32 v40, v20
	v_mov_b32_e32 v41, v23
	;; [unrolled: 1-line block ×3, first 2 shown]
	s_waitcnt lgkmcnt(1)
	v_mov_b32_e32 v39, v15
	v_mov_b32_e32 v16, v14
	;; [unrolled: 1-line block ×9, first 2 shown]
.LBB0_21:
	s_or_b64 exec, exec, s[4:5]
	s_waitcnt lgkmcnt(0)
	s_barrier
	s_and_saveexec_b64 s[4:5], vcc
	s_cbranch_execz .LBB0_23
; %bb.22:
	s_movk_i32 s10, 0xab
	v_mul_lo_u16_sdwa v2, v28, s10 dst_sel:DWORD dst_unused:UNUSED_PAD src0_sel:BYTE_0 src1_sel:DWORD
	v_lshrrev_b16_e32 v31, 11, v2
	v_mul_lo_u16_e32 v2, 12, v31
	v_sub_u16_e32 v37, v28, v2
	v_mov_b32_e32 v2, 12
	v_mul_u32_u24_sdwa v2, v37, v2 dst_sel:DWORD dst_unused:UNUSED_PAD src0_sel:BYTE_0 src1_sel:DWORD
	v_lshlrev_b32_e32 v2, 3, v2
	global_load_dwordx4 v[44:47], v2, s[8:9] offset:160
	global_load_dwordx4 v[48:51], v2, s[8:9] offset:96
	;; [unrolled: 1-line block ×6, first 2 shown]
	v_mov_b32_e32 v2, v43
	v_mov_b32_e32 v22, v41
	v_mov_b32_e32 v68, v7
	v_mov_b32_e32 v70, v15
	v_mov_b32_e32 v72, v13
	v_mov_b32_e32 v74, v11
	v_mov_b32_e32 v84, v4
	v_mov_b32_e32 v85, v9
	v_mov_b32_e32 v4, v8
	v_mov_b32_e32 v76, v21
	v_mov_b32_e32 v8, v9
	v_mov_b32_e32 v78, v19
	v_mov_b32_e32 v82, v17
	v_mov_b32_e32 v86, v5
	v_mov_b32_e32 v80, v39
	s_mov_b32 s27, 0xbeedf032
	s_mov_b32 s26, 0x3f62ad3f
	;; [unrolled: 1-line block ×39, first 2 shown]
	s_waitcnt vmcnt(5)
	v_pk_mul_f32 v[2:3], v[2:3], v[46:47] op_sel_hi:[0,1]
	s_waitcnt vmcnt(4)
	v_pk_mul_f32 v[88:89], v[6:7], v[48:49] op_sel:[0,1] op_sel_hi:[1,0]
	v_pk_mul_f32 v[22:23], v[22:23], v[44:45] op_sel_hi:[0,1]
	v_pk_mul_f32 v[68:69], v[68:69], v[48:49] op_sel:[0,1] op_sel_hi:[1,0]
	v_pk_mul_f32 v[70:71], v[70:71], v[50:51] op_sel_hi:[0,1]
	s_waitcnt vmcnt(3)
	v_pk_mul_f32 v[72:73], v[72:73], v[54:55] op_sel_hi:[0,1]
	v_pk_mul_f32 v[74:75], v[74:75], v[52:53] op_sel_hi:[0,1]
	s_waitcnt vmcnt(0)
	v_mov_b32_e32 v88, v65
	v_pk_mul_f32 v[90:91], v[84:85], v[64:65]
	v_pk_mul_f32 v[94:95], v[4:5], v[66:67]
	v_pk_fma_f32 v[96:97], v[42:43], v[46:47], v[2:3] op_sel:[0,0,1] op_sel_hi:[0,1,0] neg_lo:[0,0,1] neg_hi:[0,0,1]
	v_pk_fma_f32 v[42:43], v[42:43], v[46:47], v[2:3] op_sel:[0,0,1] op_sel_hi:[0,1,0]
	v_pk_fma_f32 v[46:47], v[20:21], v[44:45], v[22:23] op_sel:[0,0,1] op_sel_hi:[0,1,0] neg_lo:[0,0,1] neg_hi:[0,0,1]
	v_pk_fma_f32 v[20:21], v[20:21], v[44:45], v[22:23] op_sel:[0,0,1] op_sel_hi:[0,1,0]
	v_mov_b32_e32 v2, v89
	v_pk_fma_f32 v[22:23], v[6:7], v[48:49], v[68:69] neg_lo:[0,0,1] neg_hi:[0,0,1]
	v_pk_fma_f32 v[44:45], v[10:11], v[50:51], v[70:71] op_sel:[0,0,1] op_sel_hi:[1,1,0] neg_lo:[0,0,1] neg_hi:[0,0,1]
	v_pk_fma_f32 v[10:11], v[10:11], v[50:51], v[70:71] op_sel:[0,0,1] op_sel_hi:[0,1,0]
	v_pk_fma_f32 v[50:51], v[12:13], v[54:55], v[72:73] op_sel:[0,0,1] op_sel_hi:[1,1,0] neg_lo:[0,0,1] neg_hi:[0,0,1]
	v_pk_fma_f32 v[12:13], v[12:13], v[54:55], v[72:73] op_sel:[0,0,1] op_sel_hi:[0,1,0]
	;; [unrolled: 2-line block ×3, first 2 shown]
	v_pk_mul_f32 v[52:53], v[84:85], v[88:89]
	v_pk_mul_f32 v[76:77], v[76:77], v[58:59] op_sel_hi:[0,1]
	v_mov_b32_e32 v10, v91
	v_mov_b32_e32 v12, v95
	v_pk_fma_f32 v[48:49], v[6:7], v[48:49], v[2:3] op_sel:[0,1,0] op_sel_hi:[1,0,1]
	v_pk_fma_f32 v[2:3], v[8:9], v[64:65], v[52:53] op_sel_hi:[0,1,1] neg_lo:[0,0,1] neg_hi:[0,0,1]
	v_pk_fma_f32 v[70:71], v[40:41], v[58:59], v[76:77] op_sel:[0,0,1] op_sel_hi:[0,1,0] neg_lo:[0,0,1] neg_hi:[0,0,1]
	v_pk_fma_f32 v[40:41], v[40:41], v[58:59], v[76:77] op_sel:[0,0,1] op_sel_hi:[0,1,0]
	v_pk_fma_f32 v[58:59], v[84:85], v[64:65], v[10:11]
	v_pk_fma_f32 v[8:9], v[4:5], v[66:67], v[12:13]
	v_mov_b32_e32 v45, v11
	v_pk_add_f32 v[10:11], v[0:1], v[2:3]
	v_mov_b32_e32 v90, v67
	v_mov_b32_e32 v11, v8
	v_pk_mul_f32 v[78:79], v[78:79], v[56:57] op_sel_hi:[0,1]
	v_pk_mul_f32 v[82:83], v[82:83], v[62:63] op_sel_hi:[0,1]
	v_pk_mul_f32 v[54:55], v[4:5], v[90:91]
	v_mov_b32_e32 v69, v15
	v_mov_b32_e32 v5, v58
	v_pk_add_f32 v[14:15], v[2:3], v[96:97] neg_lo:[0,1] neg_hi:[0,1]
	v_pk_add_f32 v[52:53], v[2:3], v[96:97]
	v_pk_add_f32 v[2:3], v[10:11], v[20:21]
	v_pk_fma_f32 v[72:73], v[18:19], v[56:57], v[78:79] op_sel:[0,0,1] op_sel_hi:[1,1,0] neg_lo:[0,0,1] neg_hi:[0,0,1]
	v_pk_fma_f32 v[18:19], v[18:19], v[56:57], v[78:79] op_sel:[0,0,1] op_sel_hi:[0,1,0]
	v_pk_fma_f32 v[74:75], v[38:39], v[62:63], v[82:83] op_sel:[0,0,1] op_sel_hi:[1,1,0] neg_lo:[0,0,1] neg_hi:[0,0,1]
	v_pk_fma_f32 v[38:39], v[38:39], v[62:63], v[82:83] op_sel:[0,0,1] op_sel_hi:[0,1,0]
	v_pk_fma_f32 v[62:63], v[86:87], v[66:67], v[54:55] op_sel_hi:[0,1,1] neg_lo:[0,0,1] neg_hi:[0,0,1]
	v_mov_b32_e32 v51, v13
	v_pk_add_f32 v[12:13], v[0:1], v[4:5]
	v_mov_b32_e32 v2, v43
	v_mov_b32_e32 v73, v19
	v_pk_add_f32 v[18:19], v[62:63], v[46:47] neg_lo:[0,1] neg_hi:[0,1]
	v_pk_add_f32 v[54:55], v[58:59], v[2:3] neg_lo:[0,1] neg_hi:[0,1]
	v_mov_b32_e32 v11, v13
	v_pk_add_f32 v[58:59], v[62:63], v[46:47]
	v_mov_b32_e32 v63, v8
	v_mov_b32_e32 v75, v39
	v_pk_add_f32 v[38:39], v[22:23], v[70:71] neg_lo:[0,1] neg_hi:[0,1]
	v_pk_add_f32 v[10:11], v[10:11], v[62:63]
	v_pk_add_f32 v[62:63], v[22:23], v[70:71]
	v_mov_b32_e32 v23, v48
	v_pk_add_f32 v[10:11], v[10:11], v[22:23]
	v_pk_mul_f32 v[80:81], v[80:81], v[60:61] op_sel_hi:[0,1]
	v_mov_b32_e32 v77, v21
	v_mov_b32_e32 v2, v21
	v_pk_add_f32 v[20:21], v[10:11], v[44:45]
	v_pk_fma_f32 v[56:57], v[16:17], v[60:61], v[80:81] op_sel:[0,0,1] op_sel_hi:[1,1,0] neg_lo:[0,0,1] neg_hi:[0,0,1]
	v_pk_fma_f32 v[16:17], v[16:17], v[60:61], v[80:81] op_sel:[0,0,1] op_sel_hi:[0,1,0]
	v_pk_add_f32 v[20:21], v[20:21], v[68:69]
	v_mov_b32_e32 v57, v17
	v_pk_add_f32 v[20:21], v[20:21], v[50:51]
	v_mov_b32_e32 v16, v70
	;; [unrolled: 2-line block ×4, first 2 shown]
	v_pk_add_f32 v[20:21], v[20:21], v[72:73]
	v_pk_add_f32 v[6:7], v[4:5], v[42:43]
	;; [unrolled: 1-line block ×3, first 2 shown]
	v_mov_b32_e32 v53, v14
	v_mov_b32_e32 v66, v96
	v_mov_b32_e32 v67, v43
	v_pk_add_f32 v[60:61], v[8:9], v[2:3] neg_lo:[0,1] neg_hi:[0,1]
	v_mov_b32_e32 v2, v41
	v_pk_add_f32 v[16:17], v[16:17], v[76:77]
	v_pk_mul_f32 v[14:15], v[52:53], s[26:27]
	v_mov_b32_e32 v6, v54
	v_mov_b32_e32 v5, v48
	v_pk_add_f32 v[64:65], v[48:49], v[2:3] neg_lo:[0,1] neg_hi:[0,1]
	v_pk_add_f32 v[10:11], v[50:51], v[56:57]
	v_pk_add_f32 v[48:49], v[50:51], v[56:57] neg_lo:[0,1] neg_hi:[0,1]
	v_pk_add_f32 v[56:57], v[16:17], v[66:67]
	v_pk_fma_f32 v[20:21], v[54:55], s[10:11], v[14:15] neg_lo:[1,0,0] neg_hi:[1,0,0]
	v_pk_fma_f32 v[16:17], v[6:7], s[10:11], v[14:15]
	v_mov_b32_e32 v59, v18
	v_mov_b32_e32 v21, v17
	v_pk_mul_f32 v[18:19], v[58:59], s[34:35]
	v_mov_b32_e32 v2, v60
	v_pk_add_f32 v[4:5], v[4:5], v[40:41]
	v_pk_add_f32 v[22:23], v[0:1], v[20:21]
	v_pk_fma_f32 v[40:41], v[60:61], s[12:13], v[18:19] neg_lo:[1,0,0] neg_hi:[1,0,0]
	v_pk_fma_f32 v[20:21], v[2:3], s[12:13], v[18:19]
	v_mov_b32_e32 v63, v38
	v_mov_b32_e32 v41, v21
	v_pk_add_f32 v[40:41], v[40:41], v[22:23]
	v_pk_mul_f32 v[22:23], v[62:63], s[42:43]
	v_mov_b32_e32 v4, v64
	v_pk_add_f32 v[8:9], v[44:45], v[72:73]
	v_pk_add_f32 v[42:43], v[44:45], v[72:73] neg_lo:[0,1] neg_hi:[0,1]
	v_pk_fma_f32 v[44:45], v[64:65], s[14:15], v[22:23] neg_lo:[1,0,0] neg_hi:[1,0,0]
	v_pk_fma_f32 v[38:39], v[4:5], s[14:15], v[22:23]
	v_mov_b32_e32 v88, v8
	v_mov_b32_e32 v45, v39
	;; [unrolled: 1-line block ×3, first 2 shown]
	v_pk_add_f32 v[44:45], v[44:45], v[40:41]
	v_pk_mul_f32 v[40:41], v[88:89], s[30:31]
	v_mov_b32_e32 v8, v43
	v_pk_add_f32 v[12:13], v[68:69], v[74:75]
	v_pk_add_f32 v[46:47], v[68:69], v[74:75] neg_lo:[0,1] neg_hi:[0,1]
	v_pk_fma_f32 v[50:51], v[8:9], s[16:17], v[40:41] neg_lo:[1,0,0] neg_hi:[1,0,0]
	v_pk_fma_f32 v[42:43], v[8:9], s[16:17], v[40:41]
	v_mov_b32_e32 v90, v12
	v_mov_b32_e32 v51, v43
	;; [unrolled: 1-line block ×3, first 2 shown]
	v_pk_add_f32 v[50:51], v[50:51], v[44:45]
	v_mov_b32_e32 v12, v47
	v_pk_mul_f32 v[44:45], v[90:91], s[36:37]
	v_mov_b32_e32 v94, v10
	v_pk_fma_f32 v[66:67], v[12:13], s[18:19], v[44:45] neg_lo:[1,0,0] neg_hi:[1,0,0]
	v_pk_fma_f32 v[46:47], v[12:13], s[18:19], v[44:45]
	v_mov_b32_e32 v95, v48
	v_mov_b32_e32 v67, v47
	v_pk_add_f32 v[66:67], v[66:67], v[50:51]
	v_mov_b32_e32 v10, v49
	v_pk_mul_f32 v[50:51], v[94:95], s[40:41]
	v_mov_b32_e32 v17, 3
	v_pk_fma_f32 v[68:69], v[10:11], s[20:21], v[50:51] neg_lo:[1,0,0] neg_hi:[1,0,0]
	v_pk_fma_f32 v[48:49], v[10:11], s[20:21], v[50:51]
	v_lshlrev_b32_sdwa v17, v17, v37 dst_sel:DWORD dst_unused:UNUSED_PAD src0_sel:DWORD src1_sel:BYTE_0
	v_mov_b32_e32 v69, v49
	v_mul_u32_u24_e32 v21, 0x4e0, v31
	v_pk_add_f32 v[66:67], v[68:69], v[66:67]
	v_add3_u32 v31, 0, v21, v17
	ds_write2_b64 v31, v[56:57], v[66:67] offset1:12
	v_pk_mul_f32 v[66:67], v[52:53], s[34:35]
	v_pk_mul_f32 v[70:71], v[58:59], s[30:31]
	v_pk_fma_f32 v[68:69], v[54:55], s[12:13], v[66:67] neg_lo:[1,0,0] neg_hi:[1,0,0]
	v_pk_fma_f32 v[56:57], v[6:7], s[12:13], v[66:67]
	v_pk_fma_f32 v[74:75], v[60:61], s[16:17], v[70:71] neg_lo:[1,0,0] neg_hi:[1,0,0]
	v_mov_b32_e32 v69, v57
	v_pk_add_f32 v[72:73], v[0:1], v[68:69]
	v_pk_fma_f32 v[68:69], v[2:3], s[16:17], v[70:71]
	s_mov_b32 s27, 0x3eedf032
	v_mov_b32_e32 v75, v69
	v_pk_add_f32 v[76:77], v[74:75], v[72:73]
	v_pk_mul_f32 v[74:75], v[62:63], s[40:41]
	s_mov_b32 s28, s27
	v_pk_fma_f32 v[78:79], v[64:65], s[20:21], v[74:75] neg_lo:[1,0,0] neg_hi:[1,0,0]
	v_pk_fma_f32 v[72:73], v[4:5], s[20:21], v[74:75]
	v_pk_mul_f32 v[104:105], v[58:59], s[40:41]
	v_mov_b32_e32 v79, v73
	v_pk_add_f32 v[80:81], v[78:79], v[76:77]
	v_pk_mul_f32 v[78:79], v[88:89], s[46:47]
	v_pk_fma_f32 v[106:107], v[60:61], s[20:21], v[104:105] neg_lo:[1,0,0] neg_hi:[1,0,0]
	v_pk_fma_f32 v[82:83], v[8:9], s[22:23], v[78:79] neg_lo:[1,0,0] neg_hi:[1,0,0]
	v_pk_fma_f32 v[76:77], v[8:9], s[22:23], v[78:79]
	v_pk_fma_f32 v[108:109], v[2:3], s[20:21], v[104:105]
	v_mov_b32_e32 v83, v77
	v_pk_add_f32 v[84:85], v[82:83], v[80:81]
	v_pk_mul_f32 v[82:83], v[90:91], s[44:45]
	v_mov_b32_e32 v107, v109
	v_pk_fma_f32 v[86:87], v[12:13], s[24:25], v[82:83] neg_lo:[1,0,0] neg_hi:[1,0,0]
	v_pk_fma_f32 v[80:81], v[12:13], s[24:25], v[82:83]
	v_pk_mul_f32 v[126:127], v[58:59], s[46:47]
	v_mov_b32_e32 v87, v81
	v_pk_add_f32 v[96:97], v[86:87], v[84:85]
	v_pk_mul_f32 v[86:87], v[94:95], s[26:27]
	v_pk_fma_f32 v[128:129], v[60:61], s[22:23], v[126:127] neg_lo:[1,0,0] neg_hi:[1,0,0]
	v_pk_fma_f32 v[98:99], v[10:11], s[28:29], v[86:87] neg_lo:[1,0,0] neg_hi:[1,0,0]
	v_pk_fma_f32 v[84:85], v[10:11], s[28:29], v[86:87]
	v_pk_fma_f32 v[130:131], v[2:3], s[22:23], v[126:127]
	v_mov_b32_e32 v99, v85
	v_pk_add_f32 v[96:97], v[98:99], v[96:97]
	v_pk_mul_f32 v[98:99], v[52:53], s[42:43]
	v_mov_b32_e32 v129, v131
	v_pk_fma_f32 v[100:101], v[54:55], s[14:15], v[98:99] neg_lo:[1,0,0] neg_hi:[1,0,0]
	v_pk_fma_f32 v[102:103], v[6:7], s[14:15], v[98:99]
	s_mov_b32 s46, s51
	v_mov_b32_e32 v101, v103
	v_pk_add_f32 v[100:101], v[0:1], v[100:101]
	s_mov_b32 s47, s34
	v_pk_add_f32 v[100:101], v[106:107], v[100:101]
	v_pk_mul_f32 v[106:107], v[62:63], s[48:49]
	s_mov_b32 s49, 0x3e750f2a
	v_pk_fma_f32 v[110:111], v[64:65], s[38:39], v[106:107] neg_lo:[1,0,0] neg_hi:[1,0,0]
	v_pk_fma_f32 v[112:113], v[4:5], s[38:39], v[106:107]
	s_mov_b32 s48, s40
	v_mov_b32_e32 v111, v113
	v_pk_add_f32 v[100:101], v[110:111], v[100:101]
	v_pk_mul_f32 v[110:111], v[88:89], s[26:27]
	v_pk_mul_f32 v[152:153], v[58:59], s[44:45]
	v_pk_fma_f32 v[114:115], v[8:9], s[28:29], v[110:111] neg_lo:[1,0,0] neg_hi:[1,0,0]
	v_pk_fma_f32 v[116:117], v[8:9], s[28:29], v[110:111]
	v_pk_fma_f32 v[154:155], v[60:61], s[24:25], v[152:153] neg_lo:[1,0,0] neg_hi:[1,0,0]
	v_mov_b32_e32 v115, v117
	v_pk_add_f32 v[100:101], v[114:115], v[100:101]
	v_pk_mul_f32 v[114:115], v[90:91], s[34:35]
	v_pk_fma_f32 v[156:157], v[2:3], s[24:25], v[152:153]
	v_pk_fma_f32 v[118:119], v[12:13], s[12:13], v[114:115] neg_lo:[1,0,0] neg_hi:[1,0,0]
	v_pk_fma_f32 v[120:121], v[12:13], s[12:13], v[114:115]
	v_mov_b32_e32 v155, v157
	v_mov_b32_e32 v119, v121
	v_pk_add_f32 v[100:101], v[118:119], v[100:101]
	v_pk_mul_f32 v[118:119], v[94:95], s[36:37]
	v_pk_mul_f32 v[58:59], v[58:59], s[26:27]
	v_pk_fma_f32 v[122:123], v[10:11], s[18:19], v[118:119] neg_lo:[1,0,0] neg_hi:[1,0,0]
	v_pk_fma_f32 v[124:125], v[10:11], s[18:19], v[118:119]
	v_pk_fma_f32 v[60:61], v[60:61], s[28:29], v[58:59] neg_lo:[1,0,0] neg_hi:[1,0,0]
	v_mov_b32_e32 v123, v125
	v_pk_add_f32 v[100:101], v[122:123], v[100:101]
	ds_write2_b64 v31, v[96:97], v[100:101] offset0:24 offset1:36
	v_pk_mul_f32 v[96:97], v[52:53], s[30:31]
	s_nop 0
	v_pk_fma_f32 v[100:101], v[54:55], s[16:17], v[96:97] neg_lo:[1,0,0] neg_hi:[1,0,0]
	v_pk_fma_f32 v[122:123], v[6:7], s[16:17], v[96:97]
	s_nop 0
	v_mov_b32_e32 v101, v123
	v_pk_add_f32 v[100:101], v[0:1], v[100:101]
	s_nop 0
	v_pk_add_f32 v[100:101], v[128:129], v[100:101]
	v_pk_mul_f32 v[128:129], v[62:63], s[26:27]
	s_nop 0
	v_pk_fma_f32 v[132:133], v[64:65], s[28:29], v[128:129] neg_lo:[1,0,0] neg_hi:[1,0,0]
	v_pk_fma_f32 v[134:135], v[4:5], s[28:29], v[128:129]
	s_nop 0
	v_mov_b32_e32 v133, v135
	v_pk_add_f32 v[100:101], v[132:133], v[100:101]
	v_pk_mul_f32 v[132:133], v[88:89], s[42:43]
	s_mov_b32 s42, s49
	v_pk_fma_f32 v[136:137], v[8:9], s[14:15], v[132:133] neg_lo:[1,0,0] neg_hi:[1,0,0]
	v_pk_fma_f32 v[138:139], v[8:9], s[14:15], v[132:133]
	s_mov_b32 s43, s40
	v_mov_b32_e32 v137, v139
	v_pk_add_f32 v[100:101], v[136:137], v[100:101]
	v_pk_mul_f32 v[136:137], v[90:91], s[48:49]
	s_nop 0
	v_pk_fma_f32 v[140:141], v[12:13], s[42:43], v[136:137] neg_lo:[1,0,0] neg_hi:[1,0,0]
	v_pk_fma_f32 v[142:143], v[12:13], s[42:43], v[136:137]
	s_nop 0
	v_mov_b32_e32 v141, v143
	v_pk_add_f32 v[100:101], v[140:141], v[100:101]
	v_pk_mul_f32 v[140:141], v[94:95], s[50:51]
	s_nop 0
	v_pk_fma_f32 v[144:145], v[10:11], s[46:47], v[140:141] neg_lo:[1,0,0] neg_hi:[1,0,0]
	v_pk_fma_f32 v[146:147], v[10:11], s[46:47], v[140:141]
	s_nop 0
	v_mov_b32_e32 v145, v147
	v_pk_add_f32 v[100:101], v[144:145], v[100:101]
	v_pk_mul_f32 v[144:145], v[52:53], s[36:37]
	v_pk_mul_f32 v[52:53], v[52:53], s[40:41]
	v_pk_fma_f32 v[148:149], v[54:55], s[18:19], v[144:145] neg_lo:[1,0,0] neg_hi:[1,0,0]
	v_pk_fma_f32 v[150:151], v[6:7], s[18:19], v[144:145]
	v_pk_fma_f32 v[54:55], v[54:55], s[20:21], v[52:53] neg_lo:[1,0,0] neg_hi:[1,0,0]
	v_mov_b32_e32 v149, v151
	v_pk_add_f32 v[148:149], v[0:1], v[148:149]
	s_nop 0
	v_pk_add_f32 v[148:149], v[154:155], v[148:149]
	v_pk_mul_f32 v[154:155], v[62:63], s[34:35]
	s_nop 0
	v_pk_fma_f32 v[158:159], v[64:65], s[12:13], v[154:155] neg_lo:[1,0,0] neg_hi:[1,0,0]
	v_pk_fma_f32 v[160:161], v[4:5], s[12:13], v[154:155]
	s_nop 0
	v_mov_b32_e32 v159, v161
	v_pk_add_f32 v[148:149], v[158:159], v[148:149]
	v_pk_mul_f32 v[158:159], v[88:89], s[48:49]
	s_nop 0
	v_pk_fma_f32 v[162:163], v[8:9], s[42:43], v[158:159] neg_lo:[1,0,0] neg_hi:[1,0,0]
	v_pk_fma_f32 v[164:165], v[8:9], s[42:43], v[158:159]
	s_nop 0
	v_mov_b32_e32 v163, v165
	;; [unrolled: 7-line block ×4, first 2 shown]
	v_pk_add_f32 v[148:149], v[170:171], v[148:149]
	ds_write2_b64 v31, v[100:101], v[148:149] offset0:48 offset1:60
	v_pk_fma_f32 v[100:101], v[6:7], s[20:21], v[52:53]
	v_pk_fma_f32 v[148:149], v[2:3], s[28:29], v[58:59]
	v_mov_b32_e32 v55, v101
	v_pk_add_f32 v[54:55], v[0:1], v[54:55]
	v_mov_b32_e32 v61, v149
	v_pk_add_f32 v[54:55], v[60:61], v[54:55]
	v_pk_mul_f32 v[60:61], v[62:63], s[36:37]
	v_pk_fma_f32 v[52:53], v[6:7], s[20:21], v[52:53] neg_lo:[0,0,1] neg_hi:[0,0,1]
	v_pk_fma_f32 v[62:63], v[64:65], s[18:19], v[60:61] neg_lo:[1,0,0] neg_hi:[1,0,0]
	v_pk_fma_f32 v[64:65], v[4:5], s[18:19], v[60:61]
	v_mov_b32_e32 v101, v53
	v_mov_b32_e32 v63, v65
	v_pk_add_f32 v[54:55], v[62:63], v[54:55]
	v_pk_mul_f32 v[62:63], v[88:89], s[50:51]
	v_pk_fma_f32 v[52:53], v[2:3], s[28:29], v[58:59] neg_lo:[0,0,1] neg_hi:[0,0,1]
	v_pk_fma_f32 v[88:89], v[8:9], s[46:47], v[62:63] neg_lo:[1,0,0] neg_hi:[1,0,0]
	v_pk_fma_f32 v[170:171], v[8:9], s[46:47], v[62:63]
	v_mov_b32_e32 v149, v53
	v_mov_b32_e32 v89, v171
	v_pk_add_f32 v[54:55], v[88:89], v[54:55]
	v_pk_mul_f32 v[88:89], v[90:91], s[30:31]
	v_pk_add_f32 v[52:53], v[0:1], v[100:101]
	v_pk_fma_f32 v[90:91], v[12:13], s[16:17], v[88:89] neg_lo:[1,0,0] neg_hi:[1,0,0]
	v_pk_fma_f32 v[174:175], v[12:13], s[16:17], v[88:89]
	v_pk_fma_f32 v[58:59], v[4:5], s[18:19], v[60:61] neg_lo:[0,0,1] neg_hi:[0,0,1]
	v_mov_b32_e32 v91, v175
	v_pk_add_f32 v[52:53], v[148:149], v[52:53]
	v_mov_b32_e32 v65, v59
	v_pk_fma_f32 v[58:59], v[8:9], s[46:47], v[62:63] neg_lo:[0,0,1] neg_hi:[0,0,1]
	v_pk_add_f32 v[54:55], v[90:91], v[54:55]
	v_pk_mul_f32 v[90:91], v[94:95], s[44:45]
	v_pk_add_f32 v[52:53], v[64:65], v[52:53]
	v_mov_b32_e32 v171, v59
	v_pk_fma_f32 v[58:59], v[12:13], s[16:17], v[88:89] neg_lo:[0,0,1] neg_hi:[0,0,1]
	v_pk_fma_f32 v[94:95], v[10:11], s[24:25], v[90:91] neg_lo:[1,0,0] neg_hi:[1,0,0]
	v_pk_fma_f32 v[176:177], v[10:11], s[24:25], v[90:91]
	v_pk_add_f32 v[52:53], v[170:171], v[52:53]
	v_mov_b32_e32 v175, v59
	v_pk_fma_f32 v[58:59], v[10:11], s[24:25], v[90:91] neg_lo:[0,0,1] neg_hi:[0,0,1]
	v_mov_b32_e32 v95, v177
	v_pk_add_f32 v[52:53], v[174:175], v[52:53]
	v_mov_b32_e32 v177, v59
	v_pk_add_f32 v[54:55], v[94:95], v[54:55]
	v_pk_add_f32 v[52:53], v[176:177], v[52:53]
	ds_write2_b64 v31, v[54:55], v[52:53] offset0:72 offset1:84
	v_pk_fma_f32 v[54:55], v[4:5], s[12:13], v[154:155] neg_lo:[0,0,1] neg_hi:[0,0,1]
	v_pk_fma_f32 v[52:53], v[6:7], s[18:19], v[144:145] neg_lo:[0,0,1] neg_hi:[0,0,1]
	v_mov_b32_e32 v161, v55
	v_pk_fma_f32 v[54:55], v[8:9], s[42:43], v[158:159] neg_lo:[0,0,1] neg_hi:[0,0,1]
	v_mov_b32_e32 v151, v53
	v_mov_b32_e32 v165, v55
	v_pk_fma_f32 v[54:55], v[12:13], s[28:29], v[162:163] neg_lo:[0,0,1] neg_hi:[0,0,1]
	v_pk_fma_f32 v[52:53], v[2:3], s[24:25], v[152:153] neg_lo:[0,0,1] neg_hi:[0,0,1]
	v_mov_b32_e32 v169, v55
	v_pk_fma_f32 v[54:55], v[10:11], s[16:17], v[166:167] neg_lo:[0,0,1] neg_hi:[0,0,1]
	v_mov_b32_e32 v157, v53
	v_mov_b32_e32 v173, v55
	v_pk_fma_f32 v[54:55], v[6:7], s[16:17], v[96:97] neg_lo:[0,0,1] neg_hi:[0,0,1]
	v_pk_add_f32 v[52:53], v[0:1], v[150:151]
	v_mov_b32_e32 v123, v55
	v_pk_fma_f32 v[54:55], v[2:3], s[22:23], v[126:127] neg_lo:[0,0,1] neg_hi:[0,0,1]
	v_pk_fma_f32 v[58:59], v[4:5], s[28:29], v[128:129] neg_lo:[0,0,1] neg_hi:[0,0,1]
	v_mov_b32_e32 v131, v55
	v_pk_add_f32 v[54:55], v[0:1], v[122:123]
	v_pk_add_f32 v[52:53], v[156:157], v[52:53]
	;; [unrolled: 1-line block ×3, first 2 shown]
	v_mov_b32_e32 v135, v59
	v_pk_fma_f32 v[58:59], v[8:9], s[14:15], v[132:133] neg_lo:[0,0,1] neg_hi:[0,0,1]
	v_pk_add_f32 v[52:53], v[160:161], v[52:53]
	v_pk_add_f32 v[54:55], v[134:135], v[54:55]
	v_mov_b32_e32 v139, v59
	v_pk_fma_f32 v[58:59], v[12:13], s[42:43], v[136:137] neg_lo:[0,0,1] neg_hi:[0,0,1]
	v_pk_add_f32 v[52:53], v[164:165], v[52:53]
	v_pk_add_f32 v[54:55], v[138:139], v[54:55]
	;; [unrolled: 4-line block ×3, first 2 shown]
	v_mov_b32_e32 v147, v59
	v_pk_add_f32 v[52:53], v[172:173], v[52:53]
	v_pk_add_f32 v[54:55], v[146:147], v[54:55]
	ds_write2_b64 v31, v[52:53], v[54:55] offset0:96 offset1:108
	v_pk_fma_f32 v[54:55], v[4:5], s[38:39], v[106:107] neg_lo:[0,0,1] neg_hi:[0,0,1]
	v_pk_fma_f32 v[52:53], v[6:7], s[14:15], v[98:99] neg_lo:[0,0,1] neg_hi:[0,0,1]
	v_mov_b32_e32 v113, v55
	v_pk_fma_f32 v[54:55], v[8:9], s[28:29], v[110:111] neg_lo:[0,0,1] neg_hi:[0,0,1]
	v_mov_b32_e32 v103, v53
	v_mov_b32_e32 v117, v55
	v_pk_fma_f32 v[54:55], v[12:13], s[12:13], v[114:115] neg_lo:[0,0,1] neg_hi:[0,0,1]
	v_pk_fma_f32 v[52:53], v[2:3], s[20:21], v[104:105] neg_lo:[0,0,1] neg_hi:[0,0,1]
	v_mov_b32_e32 v121, v55
	v_pk_fma_f32 v[54:55], v[10:11], s[18:19], v[118:119] neg_lo:[0,0,1] neg_hi:[0,0,1]
	v_mov_b32_e32 v109, v53
	v_mov_b32_e32 v125, v55
	v_pk_fma_f32 v[54:55], v[6:7], s[12:13], v[66:67] neg_lo:[0,0,1] neg_hi:[0,0,1]
	v_pk_fma_f32 v[6:7], v[6:7], s[10:11], v[14:15] neg_lo:[0,0,1] neg_hi:[0,0,1]
	v_mov_b32_e32 v57, v55
	v_pk_fma_f32 v[54:55], v[2:3], s[16:17], v[70:71] neg_lo:[0,0,1] neg_hi:[0,0,1]
	v_mov_b32_e32 v17, v7
	v_pk_fma_f32 v[2:3], v[2:3], s[12:13], v[18:19] neg_lo:[0,0,1] neg_hi:[0,0,1]
	v_pk_add_f32 v[52:53], v[0:1], v[102:103]
	v_mov_b32_e32 v69, v55
	v_pk_add_f32 v[54:55], v[0:1], v[56:57]
	v_pk_fma_f32 v[56:57], v[4:5], s[20:21], v[74:75] neg_lo:[0,0,1] neg_hi:[0,0,1]
	v_pk_add_f32 v[0:1], v[0:1], v[16:17]
	v_mov_b32_e32 v21, v3
	v_pk_fma_f32 v[2:3], v[4:5], s[14:15], v[22:23] neg_lo:[0,0,1] neg_hi:[0,0,1]
	v_pk_add_f32 v[52:53], v[108:109], v[52:53]
	v_pk_add_f32 v[54:55], v[68:69], v[54:55]
	v_mov_b32_e32 v73, v57
	v_pk_fma_f32 v[56:57], v[8:9], s[22:23], v[78:79] neg_lo:[0,0,1] neg_hi:[0,0,1]
	v_pk_add_f32 v[0:1], v[20:21], v[0:1]
	v_mov_b32_e32 v39, v3
	v_pk_fma_f32 v[2:3], v[8:9], s[16:17], v[40:41] neg_lo:[0,0,1] neg_hi:[0,0,1]
	v_pk_add_f32 v[52:53], v[112:113], v[52:53]
	v_pk_add_f32 v[54:55], v[72:73], v[54:55]
	v_mov_b32_e32 v77, v57
	;; [unrolled: 7-line block ×4, first 2 shown]
	v_pk_add_f32 v[0:1], v[46:47], v[0:1]
	v_mov_b32_e32 v49, v3
	v_pk_add_f32 v[52:53], v[124:125], v[52:53]
	v_pk_add_f32 v[54:55], v[84:85], v[54:55]
	;; [unrolled: 1-line block ×3, first 2 shown]
	ds_write2_b64 v31, v[52:53], v[54:55] offset0:120 offset1:132
	ds_write_b64 v31, v[0:1] offset:1152
.LBB0_23:
	s_or_b64 exec, exec, s[4:5]
	v_lshrrev_b16_e32 v10, 2, v33
	v_mov_b32_e32 v31, 0
	v_subrev_u32_e32 v6, 39, v28
	v_cmp_gt_u32_e32 vcc, 39, v28
	v_mul_u32_u24_e32 v10, 0xd21, v10
	v_lshl_add_u64 v[0:1], v[30:31], 3, s[8:9]
	v_cndmask_b32_e32 v22, v6, v35, vcc
	v_lshrrev_b32_e32 v23, 17, v10
	s_waitcnt lgkmcnt(0)
	s_barrier
	global_load_dwordx4 v[2:5], v[0:1], off offset:1232
	v_lshlrev_b32_e32 v30, 1, v22
	v_mul_lo_u16_e32 v10, 0x9c, v23
	v_lshl_add_u64 v[6:7], v[30:31], 3, s[8:9]
	global_load_dwordx4 v[6:9], v[6:7], off offset:1232
	v_sub_u16_e32 v30, v33, v10
	v_lshrrev_b16_e32 v10, 2, v29
	v_mul_u32_u24_e32 v10, 0xd21, v10
	v_lshrrev_b32_e32 v10, 17, v10
	v_mul_lo_u16_e32 v10, 0x9c, v10
	v_sub_u16_e32 v29, v29, v10
	v_lshlrev_b32_e32 v10, 4, v29
	v_lshlrev_b32_e32 v14, 4, v30
	global_load_dwordx4 v[10:13], v10, s[8:9] offset:1232
	v_add_u32_e32 v62, 0xc00, v92
	global_load_dwordx4 v[14:17], v14, s[8:9] offset:1232
	v_add_u32_e32 v63, 0x1c00, v92
	v_add_u32_e32 v64, 0x1400, v92
	ds_read2_b64 v[18:21], v92 offset1:117
	ds_read2_b64 v[38:41], v62 offset0:84 offset1:201
	ds_read2_b64 v[42:45], v63 offset0:40 offset1:157
	;; [unrolled: 1-line block ×3, first 2 shown]
	v_mov_b32_e32 v33, 0xea0
	v_cmp_lt_u32_e32 vcc, 38, v28
	v_lshlrev_b32_e32 v22, 3, v22
	v_add_u32_e32 v65, 0x400, v92
	v_cndmask_b32_e32 v33, 0, v33, vcc
	v_add3_u32 v33, 0, v33, v22
	v_mul_u32_u24_e32 v22, 0xea0, v23
	v_lshlrev_b32_e32 v23, 3, v30
	v_add3_u32 v35, 0, v22, v23
	s_mov_b32 s4, 0x3f5db3d7
	v_add_u32_e32 v66, 0x2400, v92
	ds_read2_b64 v[50:53], v65 offset0:106 offset1:223
	ds_read2_b64 v[54:57], v66 offset0:18 offset1:135
	s_waitcnt lgkmcnt(0)
	s_barrier
	v_lshl_add_u32 v29, v29, 3, 0
	v_mov_b32_e32 v37, v31
	s_waitcnt vmcnt(3)
	v_pk_mul_f32 v[22:23], v[2:3], v[38:39] op_sel:[0,1]
	v_pk_mul_f32 v[58:59], v[4:5], v[42:43] op_sel:[0,1]
	v_pk_fma_f32 v[60:61], v[2:3], v[38:39], v[22:23] op_sel:[0,0,1] op_sel_hi:[1,1,0] neg_lo:[0,0,1] neg_hi:[0,0,1]
	v_pk_fma_f32 v[2:3], v[2:3], v[38:39], v[22:23] op_sel:[0,0,1] op_sel_hi:[1,0,0]
	v_pk_fma_f32 v[22:23], v[4:5], v[42:43], v[58:59] op_sel:[0,0,1] op_sel_hi:[1,1,0] neg_lo:[0,0,1] neg_hi:[0,0,1]
	v_pk_fma_f32 v[4:5], v[4:5], v[42:43], v[58:59] op_sel:[0,0,1] op_sel_hi:[1,0,0]
	v_mov_b32_e32 v61, v3
	v_mov_b32_e32 v23, v5
	s_waitcnt vmcnt(2)
	v_pk_mul_f32 v[2:3], v[6:7], v[40:41] op_sel:[0,1]
	v_pk_add_f32 v[38:39], v[60:61], v[22:23]
	v_pk_add_f32 v[42:43], v[60:61], v[22:23] neg_lo:[0,1] neg_hi:[0,1]
	v_pk_mul_f32 v[4:5], v[8:9], v[44:45] op_sel:[0,1]
	v_pk_add_f32 v[58:59], v[18:19], v[60:61]
	v_pk_fma_f32 v[60:61], v[6:7], v[40:41], v[2:3] op_sel:[0,0,1] op_sel_hi:[1,1,0] neg_lo:[0,0,1] neg_hi:[0,0,1]
	v_pk_fma_f32 v[2:3], v[6:7], v[40:41], v[2:3] op_sel:[0,0,1] op_sel_hi:[1,0,0]
	v_pk_fma_f32 v[18:19], v[38:39], 0.5, v[18:19] op_sel_hi:[1,0,1] neg_lo:[1,0,0] neg_hi:[1,0,0]
	v_pk_mul_f32 v[38:39], v[42:43], s[4:5] op_sel_hi:[1,0]
	v_pk_fma_f32 v[6:7], v[8:9], v[44:45], v[4:5] op_sel:[0,0,1] op_sel_hi:[1,1,0] neg_lo:[0,0,1] neg_hi:[0,0,1]
	v_pk_add_f32 v[22:23], v[58:59], v[22:23]
	v_mov_b32_e32 v61, v3
	v_pk_add_f32 v[58:59], v[18:19], v[38:39] op_sel:[0,1] op_sel_hi:[1,0]
	v_pk_add_f32 v[18:19], v[18:19], v[38:39] op_sel:[0,1] op_sel_hi:[1,0] neg_lo:[0,1] neg_hi:[0,1]
	v_pk_fma_f32 v[4:5], v[8:9], v[44:45], v[4:5] op_sel:[0,0,1] op_sel_hi:[1,0,0]
	v_mov_b32_e32 v8, v58
	v_mov_b32_e32 v7, v5
	v_pk_add_f32 v[4:5], v[20:21], v[60:61]
	v_mov_b32_e32 v9, v19
	s_waitcnt vmcnt(1)
	v_pk_mul_f32 v[40:41], v[48:49], v[10:11] op_sel:[0,1]
	v_mov_b32_e32 v2, v13
	s_waitcnt vmcnt(0)
	v_pk_mul_f32 v[42:43], v[14:15], v[46:47] op_sel:[0,1]
	v_mov_b32_e32 v30, v17
	v_pk_add_f32 v[4:5], v[4:5], v[6:7]
	ds_write2_b64 v92, v[22:23], v[8:9] offset1:156
	v_pk_add_f32 v[8:9], v[60:61], v[6:7]
	v_pk_add_f32 v[6:7], v[60:61], v[6:7] neg_lo:[0,1] neg_hi:[0,1]
	v_pk_fma_f32 v[38:39], v[48:49], v[10:11], v[40:41] op_sel:[0,0,1] op_sel_hi:[1,1,0] neg_lo:[0,0,1] neg_hi:[0,0,1]
	v_pk_fma_f32 v[10:11], v[48:49], v[10:11], v[40:41] op_sel:[0,0,1] op_sel_hi:[1,0,0]
	v_pk_mul_f32 v[2:3], v[56:57], v[2:3] op_sel_hi:[1,0]
	v_pk_fma_f32 v[40:41], v[14:15], v[46:47], v[42:43] op_sel:[0,0,1] op_sel_hi:[1,1,0] neg_lo:[0,0,1] neg_hi:[0,0,1]
	v_pk_fma_f32 v[14:15], v[14:15], v[46:47], v[42:43] op_sel:[0,0,1] op_sel_hi:[1,0,0]
	v_pk_mul_f32 v[42:43], v[54:55], v[30:31] op_sel_hi:[1,0]
	v_pk_fma_f32 v[8:9], v[8:9], 0.5, v[20:21] op_sel_hi:[1,0,1] neg_lo:[1,0,0] neg_hi:[1,0,0]
	v_pk_mul_f32 v[6:7], v[6:7], s[4:5] op_sel_hi:[1,0]
	v_mov_b32_e32 v39, v11
	v_pk_fma_f32 v[10:11], v[56:57], v[12:13], v[2:3] op_sel:[0,0,1] op_sel_hi:[1,1,0] neg_lo:[0,0,1] neg_hi:[0,0,1]
	v_pk_fma_f32 v[2:3], v[56:57], v[12:13], v[2:3] op_sel:[0,0,1] op_sel_hi:[1,0,0]
	v_mov_b32_e32 v41, v15
	v_pk_fma_f32 v[12:13], v[54:55], v[16:17], v[42:43] op_sel:[0,0,1] op_sel_hi:[1,1,0] neg_lo:[0,0,1] neg_hi:[0,0,1]
	v_pk_fma_f32 v[14:15], v[54:55], v[16:17], v[42:43] op_sel:[0,0,1] op_sel_hi:[1,0,0]
	v_pk_add_f32 v[16:17], v[8:9], v[6:7] op_sel:[0,1] op_sel_hi:[1,0]
	v_pk_add_f32 v[6:7], v[8:9], v[6:7] op_sel:[0,1] op_sel_hi:[1,0] neg_lo:[0,1] neg_hi:[0,1]
	v_mov_b32_e32 v13, v15
	v_mov_b32_e32 v19, v59
	;; [unrolled: 1-line block ×5, first 2 shown]
	ds_write_b64 v92, v[18:19] offset:2496
	ds_write2_b64 v33, v[4:5], v[8:9] offset1:156
	ds_write_b64 v33, v[6:7] offset:2496
	v_pk_add_f32 v[4:5], v[40:41], v[12:13]
	v_pk_add_f32 v[6:7], v[40:41], v[12:13] neg_lo:[0,1] neg_hi:[0,1]
	v_pk_fma_f32 v[4:5], v[4:5], 0.5, v[50:51] op_sel_hi:[1,0,1] neg_lo:[1,0,0] neg_hi:[1,0,0]
	v_pk_mul_f32 v[6:7], v[6:7], s[4:5] op_sel_hi:[1,0]
	v_pk_add_f32 v[14:15], v[50:51], v[40:41]
	v_pk_add_f32 v[8:9], v[4:5], v[6:7] op_sel:[0,1] op_sel_hi:[1,0]
	v_pk_add_f32 v[4:5], v[4:5], v[6:7] op_sel:[0,1] op_sel_hi:[1,0] neg_lo:[0,1] neg_hi:[0,1]
	v_mov_b32_e32 v11, v3
	v_pk_add_f32 v[14:15], v[14:15], v[12:13]
	v_mov_b32_e32 v6, v8
	v_mov_b32_e32 v7, v5
	;; [unrolled: 1-line block ×3, first 2 shown]
	ds_write2_b64 v35, v[14:15], v[6:7] offset1:156
	ds_write_b64 v35, v[4:5] offset:2496
	v_pk_add_f32 v[4:5], v[38:39], v[10:11]
	v_pk_add_f32 v[6:7], v[38:39], v[10:11] neg_lo:[0,1] neg_hi:[0,1]
	v_pk_fma_f32 v[4:5], v[4:5], 0.5, v[52:53] op_sel_hi:[1,0,1] neg_lo:[1,0,0] neg_hi:[1,0,0]
	v_pk_mul_f32 v[6:7], v[6:7], s[4:5] op_sel_hi:[1,0]
	v_pk_add_f32 v[2:3], v[52:53], v[38:39]
	v_pk_add_f32 v[8:9], v[4:5], v[6:7] op_sel:[0,1] op_sel_hi:[1,0]
	v_pk_add_f32 v[4:5], v[4:5], v[6:7] op_sel:[0,1] op_sel_hi:[1,0] neg_lo:[0,1] neg_hi:[0,1]
	v_pk_add_f32 v[2:3], v[2:3], v[10:11]
	v_mov_b32_e32 v6, v8
	v_mov_b32_e32 v7, v5
	v_add_u32_e32 v5, 0x1c00, v29
	ds_write2_b64 v5, v[2:3], v[6:7] offset0:40 offset1:196
	v_mov_b32_e32 v5, v9
	ds_write_b64 v29, v[4:5] offset:9984
	v_lshl_add_u64 v[4:5], v[36:37], 3, s[8:9]
	v_mov_b32_e32 v35, v31
	s_waitcnt lgkmcnt(0)
	s_barrier
	global_load_dwordx4 v[0:3], v[0:1], off offset:3728
	v_lshl_add_u64 v[8:9], v[34:35], 3, s[8:9]
	global_load_dwordx4 v[4:7], v[4:5], off offset:3728
	v_mov_b32_e32 v33, v31
	global_load_dwordx4 v[8:11], v[8:9], off offset:3728
	v_lshl_add_u64 v[12:13], v[32:33], 3, s[8:9]
	global_load_dwordx4 v[12:15], v[12:13], off offset:3728
	ds_read2_b64 v[16:19], v62 offset0:84 offset1:201
	ds_read2_b64 v[20:23], v63 offset0:40 offset1:157
	;; [unrolled: 1-line block ×3, first 2 shown]
	ds_read2_b64 v[36:39], v92 offset1:117
	ds_read2_b64 v[40:43], v65 offset0:106 offset1:223
	ds_read2_b64 v[44:47], v66 offset0:18 offset1:135
	s_waitcnt lgkmcnt(0)
	s_barrier
	s_waitcnt vmcnt(3)
	v_pk_mul_f32 v[48:49], v[0:1], v[16:17] op_sel:[0,1]
	v_pk_mul_f32 v[50:51], v[2:3], v[20:21] op_sel:[0,1]
	s_waitcnt vmcnt(2)
	v_pk_mul_f32 v[52:53], v[4:5], v[18:19] op_sel:[0,1]
	v_pk_mul_f32 v[54:55], v[6:7], v[22:23] op_sel:[0,1]
	s_waitcnt vmcnt(1)
	v_pk_mul_f32 v[56:57], v[8:9], v[32:33] op_sel:[0,1]
	v_pk_fma_f32 v[58:59], v[0:1], v[16:17], v[48:49] op_sel:[0,0,1] op_sel_hi:[1,1,0] neg_lo:[0,0,1] neg_hi:[0,0,1]
	v_pk_fma_f32 v[0:1], v[0:1], v[16:17], v[48:49] op_sel:[0,0,1] op_sel_hi:[1,0,0]
	v_pk_fma_f32 v[16:17], v[2:3], v[20:21], v[50:51] op_sel:[0,0,1] op_sel_hi:[1,1,0] neg_lo:[0,0,1] neg_hi:[0,0,1]
	v_pk_fma_f32 v[2:3], v[2:3], v[20:21], v[50:51] op_sel:[0,0,1] op_sel_hi:[1,0,0]
	;; [unrolled: 2-line block ×5, first 2 shown]
	v_mov_b32_e32 v4, v11
	v_mov_b32_e32 v21, v5
	;; [unrolled: 1-line block ×3, first 2 shown]
	v_pk_mul_f32 v[4:5], v[44:45], v[4:5] op_sel_hi:[1,0]
	s_waitcnt vmcnt(0)
	v_pk_mul_f32 v[8:9], v[34:35], v[12:13] op_sel:[0,1]
	v_mov_b32_e32 v59, v1
	v_mov_b32_e32 v19, v7
	v_pk_fma_f32 v[6:7], v[44:45], v[10:11], v[4:5] op_sel:[0,0,1] op_sel_hi:[1,1,0] neg_lo:[0,0,1] neg_hi:[0,0,1]
	v_pk_fma_f32 v[4:5], v[44:45], v[10:11], v[4:5] op_sel:[0,0,1] op_sel_hi:[1,0,0]
	v_pk_fma_f32 v[10:11], v[34:35], v[12:13], v[8:9] op_sel:[0,0,1] op_sel_hi:[1,1,0] neg_lo:[0,0,1] neg_hi:[0,0,1]
	v_pk_fma_f32 v[8:9], v[34:35], v[12:13], v[8:9] op_sel:[0,0,1] op_sel_hi:[1,0,0]
	v_mov_b32_e32 v17, v3
	v_pk_add_f32 v[0:1], v[36:37], v[58:59]
	v_pk_add_f32 v[2:3], v[38:39], v[20:21]
	v_mov_b32_e32 v8, v15
	v_pk_add_f32 v[0:1], v[0:1], v[16:17]
	v_pk_add_f32 v[2:3], v[2:3], v[18:19]
	v_mov_b32_e32 v11, v9
	v_pk_mul_f32 v[8:9], v[46:47], v[8:9] op_sel_hi:[1,0]
	ds_write2_b64 v92, v[0:1], v[2:3] offset1:117
	v_pk_fma_f32 v[12:13], v[46:47], v[14:15], v[8:9] op_sel:[0,0,1] op_sel_hi:[1,1,0] neg_lo:[0,0,1] neg_hi:[0,0,1]
	v_pk_fma_f32 v[8:9], v[46:47], v[14:15], v[8:9] op_sel:[0,0,1] op_sel_hi:[1,0,0]
	v_pk_add_f32 v[14:15], v[58:59], v[16:17]
	v_pk_add_f32 v[16:17], v[58:59], v[16:17] neg_lo:[0,1] neg_hi:[0,1]
	v_pk_add_f32 v[0:1], v[20:21], v[18:19]
	v_pk_add_f32 v[2:3], v[20:21], v[18:19] neg_lo:[0,1] neg_hi:[0,1]
	v_pk_fma_f32 v[14:15], v[14:15], 0.5, v[36:37] op_sel_hi:[1,0,1] neg_lo:[1,0,0] neg_hi:[1,0,0]
	v_pk_mul_f32 v[16:17], v[16:17], s[4:5] op_sel_hi:[1,0]
	v_pk_fma_f32 v[0:1], v[0:1], 0.5, v[38:39] op_sel_hi:[1,0,1] neg_lo:[1,0,0] neg_hi:[1,0,0]
	v_pk_mul_f32 v[2:3], v[2:3], s[4:5] op_sel_hi:[1,0]
	v_pk_add_f32 v[32:33], v[14:15], v[16:17] op_sel:[0,1] op_sel_hi:[1,0]
	v_pk_add_f32 v[14:15], v[14:15], v[16:17] op_sel:[0,1] op_sel_hi:[1,0] neg_lo:[0,1] neg_hi:[0,1]
	v_pk_add_f32 v[18:19], v[0:1], v[2:3] op_sel:[0,1] op_sel_hi:[1,0]
	v_pk_add_f32 v[0:1], v[0:1], v[2:3] op_sel:[0,1] op_sel_hi:[1,0] neg_lo:[0,1] neg_hi:[0,1]
	v_mov_b32_e32 v7, v5
	v_mov_b32_e32 v16, v32
	;; [unrolled: 1-line block ×7, first 2 shown]
	ds_write2_b64 v62, v[16:17], v[2:3] offset0:84 offset1:201
	ds_write2_b64 v63, v[14:15], v[0:1] offset0:40 offset1:157
	v_pk_add_f32 v[0:1], v[22:23], v[6:7]
	v_pk_add_f32 v[2:3], v[22:23], v[6:7] neg_lo:[0,1] neg_hi:[0,1]
	v_pk_add_f32 v[4:5], v[40:41], v[22:23]
	v_mov_b32_e32 v13, v9
	v_pk_add_f32 v[8:9], v[42:43], v[10:11]
	v_pk_fma_f32 v[0:1], v[0:1], 0.5, v[40:41] op_sel_hi:[1,0,1] neg_lo:[1,0,0] neg_hi:[1,0,0]
	v_pk_mul_f32 v[2:3], v[2:3], s[4:5] op_sel_hi:[1,0]
	v_pk_add_f32 v[4:5], v[4:5], v[6:7]
	v_pk_add_f32 v[8:9], v[8:9], v[12:13]
	v_pk_add_f32 v[6:7], v[0:1], v[2:3] op_sel:[0,1] op_sel_hi:[1,0]
	v_pk_add_f32 v[0:1], v[0:1], v[2:3] op_sel:[0,1] op_sel_hi:[1,0] neg_lo:[0,1] neg_hi:[0,1]
	v_mov_b32_e32 v2, v6
	v_mov_b32_e32 v3, v1
	;; [unrolled: 1-line block ×3, first 2 shown]
	ds_write2_b64 v65, v[4:5], v[8:9] offset0:106 offset1:223
	v_pk_add_f32 v[4:5], v[10:11], v[12:13]
	v_pk_add_f32 v[6:7], v[10:11], v[12:13] neg_lo:[0,1] neg_hi:[0,1]
	v_pk_fma_f32 v[4:5], v[4:5], 0.5, v[42:43] op_sel_hi:[1,0,1] neg_lo:[1,0,0] neg_hi:[1,0,0]
	v_pk_mul_f32 v[6:7], v[6:7], s[4:5] op_sel_hi:[1,0]
	s_nop 0
	v_pk_add_f32 v[8:9], v[4:5], v[6:7] op_sel:[0,1] op_sel_hi:[1,0]
	v_pk_add_f32 v[4:5], v[4:5], v[6:7] op_sel:[0,1] op_sel_hi:[1,0] neg_lo:[0,1] neg_hi:[0,1]
	v_mov_b32_e32 v6, v8
	v_mov_b32_e32 v7, v5
	;; [unrolled: 1-line block ×3, first 2 shown]
	ds_write2_b64 v64, v[2:3], v[6:7] offset0:62 offset1:179
	ds_write2_b64 v66, v[0:1], v[4:5] offset0:18 offset1:135
	s_waitcnt lgkmcnt(0)
	s_barrier
	s_and_saveexec_b64 s[4:5], s[0:1]
	s_cbranch_execz .LBB0_25
; %bb.24:
	v_mul_lo_u32 v0, s3, v26
	v_mul_lo_u32 v1, s2, v27
	v_mad_u64_u32 v[4:5], s[0:1], s2, v26, 0
	v_lshl_add_u32 v10, v28, 3, 0
	v_add3_u32 v5, v5, v1, v0
	ds_read2_b64 v[0:3], v10 offset1:117
	v_lshl_add_u64 v[4:5], v[4:5], 3, s[6:7]
	v_mov_b32_e32 v29, v31
	v_lshl_add_u64 v[8:9], v[24:25], 3, v[4:5]
	v_lshl_add_u64 v[4:5], v[28:29], 3, v[8:9]
	s_waitcnt lgkmcnt(0)
	global_store_dwordx2 v[4:5], v[0:1], off
	v_add_u32_e32 v0, 0x400, v10
	ds_read2_b64 v[4:7], v0 offset0:106 offset1:223
	v_add_u32_e32 v30, 0x75, v28
	v_lshl_add_u64 v[0:1], v[30:31], 3, v[8:9]
	v_add_u32_e32 v30, 0xea, v28
	global_store_dwordx2 v[0:1], v[2:3], off
	v_lshl_add_u64 v[0:1], v[30:31], 3, v[8:9]
	s_waitcnt lgkmcnt(0)
	global_store_dwordx2 v[0:1], v[4:5], off
	v_add_u32_e32 v0, 0xc00, v10
	ds_read2_b64 v[0:3], v0 offset0:84 offset1:201
	v_add_u32_e32 v30, 0x15f, v28
	v_lshl_add_u64 v[4:5], v[30:31], 3, v[8:9]
	v_add_u32_e32 v30, 0x1d4, v28
	global_store_dwordx2 v[4:5], v[6:7], off
	;; [unrolled: 9-line block ×5, first 2 shown]
	v_lshl_add_u64 v[0:1], v[30:31], 3, v[8:9]
	v_add_u32_e32 v30, 0x507, v28
	s_waitcnt lgkmcnt(0)
	global_store_dwordx2 v[0:1], v[4:5], off
	v_lshl_add_u64 v[0:1], v[30:31], 3, v[8:9]
	global_store_dwordx2 v[0:1], v[6:7], off
.LBB0_25:
	s_endpgm
	.section	.rodata,"a",@progbits
	.p2align	6, 0x0
	.amdhsa_kernel fft_rtc_fwd_len1404_factors_2_2_3_13_3_3_wgs_117_tpt_117_halfLds_sp_op_CI_CI_unitstride_sbrr_C2R_dirReg
		.amdhsa_group_segment_fixed_size 0
		.amdhsa_private_segment_fixed_size 0
		.amdhsa_kernarg_size 104
		.amdhsa_user_sgpr_count 2
		.amdhsa_user_sgpr_dispatch_ptr 0
		.amdhsa_user_sgpr_queue_ptr 0
		.amdhsa_user_sgpr_kernarg_segment_ptr 1
		.amdhsa_user_sgpr_dispatch_id 0
		.amdhsa_user_sgpr_kernarg_preload_length 0
		.amdhsa_user_sgpr_kernarg_preload_offset 0
		.amdhsa_user_sgpr_private_segment_size 0
		.amdhsa_uses_dynamic_stack 0
		.amdhsa_enable_private_segment 0
		.amdhsa_system_sgpr_workgroup_id_x 1
		.amdhsa_system_sgpr_workgroup_id_y 0
		.amdhsa_system_sgpr_workgroup_id_z 0
		.amdhsa_system_sgpr_workgroup_info 0
		.amdhsa_system_vgpr_workitem_id 0
		.amdhsa_next_free_vgpr 178
		.amdhsa_next_free_sgpr 52
		.amdhsa_accum_offset 180
		.amdhsa_reserve_vcc 1
		.amdhsa_float_round_mode_32 0
		.amdhsa_float_round_mode_16_64 0
		.amdhsa_float_denorm_mode_32 3
		.amdhsa_float_denorm_mode_16_64 3
		.amdhsa_dx10_clamp 1
		.amdhsa_ieee_mode 1
		.amdhsa_fp16_overflow 0
		.amdhsa_tg_split 0
		.amdhsa_exception_fp_ieee_invalid_op 0
		.amdhsa_exception_fp_denorm_src 0
		.amdhsa_exception_fp_ieee_div_zero 0
		.amdhsa_exception_fp_ieee_overflow 0
		.amdhsa_exception_fp_ieee_underflow 0
		.amdhsa_exception_fp_ieee_inexact 0
		.amdhsa_exception_int_div_zero 0
	.end_amdhsa_kernel
	.text
.Lfunc_end0:
	.size	fft_rtc_fwd_len1404_factors_2_2_3_13_3_3_wgs_117_tpt_117_halfLds_sp_op_CI_CI_unitstride_sbrr_C2R_dirReg, .Lfunc_end0-fft_rtc_fwd_len1404_factors_2_2_3_13_3_3_wgs_117_tpt_117_halfLds_sp_op_CI_CI_unitstride_sbrr_C2R_dirReg
                                        ; -- End function
	.section	.AMDGPU.csdata,"",@progbits
; Kernel info:
; codeLenInByte = 10168
; NumSgprs: 58
; NumVgprs: 178
; NumAgprs: 0
; TotalNumVgprs: 178
; ScratchSize: 0
; MemoryBound: 0
; FloatMode: 240
; IeeeMode: 1
; LDSByteSize: 0 bytes/workgroup (compile time only)
; SGPRBlocks: 7
; VGPRBlocks: 22
; NumSGPRsForWavesPerEU: 58
; NumVGPRsForWavesPerEU: 178
; AccumOffset: 180
; Occupancy: 2
; WaveLimiterHint : 1
; COMPUTE_PGM_RSRC2:SCRATCH_EN: 0
; COMPUTE_PGM_RSRC2:USER_SGPR: 2
; COMPUTE_PGM_RSRC2:TRAP_HANDLER: 0
; COMPUTE_PGM_RSRC2:TGID_X_EN: 1
; COMPUTE_PGM_RSRC2:TGID_Y_EN: 0
; COMPUTE_PGM_RSRC2:TGID_Z_EN: 0
; COMPUTE_PGM_RSRC2:TIDIG_COMP_CNT: 0
; COMPUTE_PGM_RSRC3_GFX90A:ACCUM_OFFSET: 44
; COMPUTE_PGM_RSRC3_GFX90A:TG_SPLIT: 0
	.text
	.p2alignl 6, 3212836864
	.fill 256, 4, 3212836864
	.type	__hip_cuid_a4a57b9f8ef2c08,@object ; @__hip_cuid_a4a57b9f8ef2c08
	.section	.bss,"aw",@nobits
	.globl	__hip_cuid_a4a57b9f8ef2c08
__hip_cuid_a4a57b9f8ef2c08:
	.byte	0                               ; 0x0
	.size	__hip_cuid_a4a57b9f8ef2c08, 1

	.ident	"AMD clang version 19.0.0git (https://github.com/RadeonOpenCompute/llvm-project roc-6.4.0 25133 c7fe45cf4b819c5991fe208aaa96edf142730f1d)"
	.section	".note.GNU-stack","",@progbits
	.addrsig
	.addrsig_sym __hip_cuid_a4a57b9f8ef2c08
	.amdgpu_metadata
---
amdhsa.kernels:
  - .agpr_count:     0
    .args:
      - .actual_access:  read_only
        .address_space:  global
        .offset:         0
        .size:           8
        .value_kind:     global_buffer
      - .offset:         8
        .size:           8
        .value_kind:     by_value
      - .actual_access:  read_only
        .address_space:  global
        .offset:         16
        .size:           8
        .value_kind:     global_buffer
      - .actual_access:  read_only
        .address_space:  global
        .offset:         24
        .size:           8
        .value_kind:     global_buffer
      - .actual_access:  read_only
        .address_space:  global
        .offset:         32
        .size:           8
        .value_kind:     global_buffer
      - .offset:         40
        .size:           8
        .value_kind:     by_value
      - .actual_access:  read_only
        .address_space:  global
        .offset:         48
        .size:           8
        .value_kind:     global_buffer
      - .actual_access:  read_only
        .address_space:  global
        .offset:         56
        .size:           8
        .value_kind:     global_buffer
      - .offset:         64
        .size:           4
        .value_kind:     by_value
      - .actual_access:  read_only
        .address_space:  global
        .offset:         72
        .size:           8
        .value_kind:     global_buffer
      - .actual_access:  read_only
        .address_space:  global
        .offset:         80
        .size:           8
        .value_kind:     global_buffer
      - .actual_access:  read_only
        .address_space:  global
        .offset:         88
        .size:           8
        .value_kind:     global_buffer
      - .actual_access:  write_only
        .address_space:  global
        .offset:         96
        .size:           8
        .value_kind:     global_buffer
    .group_segment_fixed_size: 0
    .kernarg_segment_align: 8
    .kernarg_segment_size: 104
    .language:       OpenCL C
    .language_version:
      - 2
      - 0
    .max_flat_workgroup_size: 117
    .name:           fft_rtc_fwd_len1404_factors_2_2_3_13_3_3_wgs_117_tpt_117_halfLds_sp_op_CI_CI_unitstride_sbrr_C2R_dirReg
    .private_segment_fixed_size: 0
    .sgpr_count:     58
    .sgpr_spill_count: 0
    .symbol:         fft_rtc_fwd_len1404_factors_2_2_3_13_3_3_wgs_117_tpt_117_halfLds_sp_op_CI_CI_unitstride_sbrr_C2R_dirReg.kd
    .uniform_work_group_size: 1
    .uses_dynamic_stack: false
    .vgpr_count:     178
    .vgpr_spill_count: 0
    .wavefront_size: 64
amdhsa.target:   amdgcn-amd-amdhsa--gfx950
amdhsa.version:
  - 1
  - 2
...

	.end_amdgpu_metadata
